;; amdgpu-corpus repo=LLNL/RAJAPerf kind=compiled arch=gfx90a opt=O3
	.text
	.amdgcn_target "amdgcn-amd-amdhsa--gfx90a"
	.amdhsa_code_object_version 6
	.section	.text._ZN8rajaperf4apps16intsc_hexhex_hipILm64EEEvPdS2_mS2_,"axG",@progbits,_ZN8rajaperf4apps16intsc_hexhex_hipILm64EEEvPdS2_mS2_,comdat
	.protected	_ZN8rajaperf4apps16intsc_hexhex_hipILm64EEEvPdS2_mS2_ ; -- Begin function _ZN8rajaperf4apps16intsc_hexhex_hipILm64EEEvPdS2_mS2_
	.globl	_ZN8rajaperf4apps16intsc_hexhex_hipILm64EEEvPdS2_mS2_
	.p2align	8
	.type	_ZN8rajaperf4apps16intsc_hexhex_hipILm64EEEvPdS2_mS2_,@function
_ZN8rajaperf4apps16intsc_hexhex_hipILm64EEEvPdS2_mS2_: ; @_ZN8rajaperf4apps16intsc_hexhex_hipILm64EEEvPdS2_mS2_
; %bb.0:
	s_add_u32 s0, s0, s9
	s_addc_u32 s1, s1, 0
	s_load_dwordx8 s[48:55], s[4:5], 0x0
	v_mov_b32_e32 v1, 0
	s_mov_b32 s4, 0x45d00
	buffer_store_dword v0, off, s[0:3], s4  ; 4-byte Folded Spill
	s_nop 0
	buffer_store_dword v1, off, s[0:3], s4 offset:4 ; 4-byte Folded Spill
	s_mov_b32 s9, 0
	s_lshl_b64 s[56:57], s[8:9], 6
	s_add_u32 s4, 0, 0x8e389f80
	s_addc_u32 s5, 0, 15
	s_add_i32 s5, s5, 0x38e38d4
	s_mul_hi_u32 s9, s4, 0xffffffb8
	s_sub_i32 s9, s9, s4
	s_mul_i32 s10, s5, 0xffffffb8
	s_mul_i32 s6, s4, 0xffffffb8
	s_add_i32 s9, s9, s10
	s_mul_hi_u32 s7, s5, s6
	s_mul_i32 s8, s5, s6
	s_mul_i32 s11, s4, s9
	s_mul_hi_u32 s6, s4, s6
	s_mul_hi_u32 s10, s4, s9
	s_add_u32 s6, s6, s11
	s_addc_u32 s10, 0, s10
	s_add_u32 s6, s6, s8
	s_mul_hi_u32 s11, s5, s9
	s_addc_u32 s6, s10, s7
	s_addc_u32 s7, s11, 0
	s_mul_i32 s8, s5, s9
	s_add_u32 s6, s6, s8
	v_mov_b32_e32 v2, s6
	s_addc_u32 s7, 0, s7
	v_add_co_u32_e32 v4, vcc, s4, v2
	s_cmp_lg_u64 vcc, 0
	s_addc_u32 s6, s5, s7
	v_mov_b32_e32 v1, s57
	v_pk_mov_b32 v[20:21], 0, 0
	s_mov_b64 s[12:13], 0
	v_pk_mov_b32 v[18:19], v[20:21], v[20:21] op_sel:[0,1]
	v_pk_mov_b32 v[16:17], v[20:21], v[20:21] op_sel:[0,1]
	;; [unrolled: 1-line block ×3, first 2 shown]
	v_or_b32_e32 v0, s56, v0
	v_mad_u64_u32 v[2:3], s[4:5], v0, s6, 0
	v_mul_hi_u32 v5, v0, v4
	v_add_co_u32_e32 v2, vcc, v5, v2
	v_addc_co_u32_e32 v3, vcc, 0, v3, vcc
	v_mul_hi_u32 v5, s57, v4
	v_mul_lo_u32 v4, s57, v4
	s_mul_hi_u32 s4, s57, s6
	v_add_co_u32_e32 v2, vcc, v2, v4
	v_addc_co_u32_e32 v2, vcc, v3, v5, vcc
	v_mov_b32_e32 v3, s4
	v_addc_co_u32_e32 v3, vcc, 0, v3, vcc
	s_mul_i32 s4, s57, s6
	v_add_co_u32_e32 v6, vcc, s4, v2
	s_movk_i32 s6, 0x48
	v_addc_co_u32_e32 v7, vcc, 0, v3, vcc
	v_mad_u64_u32 v[2:3], s[4:5], v6, s6, 0
	v_mov_b32_e32 v4, v3
	v_mad_u64_u32 v[4:5], s[4:5], v7, s6, v[4:5]
	v_sub_co_u32_e32 v2, vcc, v0, v2
	v_subb_co_u32_e32 v1, vcc, v1, v4, vcc
	v_subrev_co_u32_e32 v3, vcc, 0x48, v2
	v_subbrev_co_u32_e32 v4, vcc, 0, v1, vcc
	s_movk_i32 s4, 0x47
	v_cmp_lt_u32_e32 vcc, s4, v3
	v_cndmask_b32_e64 v3, 0, -1, vcc
	v_cmp_eq_u32_e32 vcc, 0, v4
	v_cndmask_b32_e32 v3, -1, v3, vcc
	v_add_co_u32_e32 v4, vcc, 2, v6
	v_addc_co_u32_e32 v5, vcc, 0, v7, vcc
	v_add_co_u32_e32 v8, vcc, 1, v6
	v_cmp_lt_u32_e64 s[4:5], s4, v2
	v_addc_co_u32_e32 v9, vcc, 0, v7, vcc
	v_cndmask_b32_e64 v2, 0, -1, s[4:5]
	v_cmp_eq_u32_e64 s[4:5], 0, v1
	v_cmp_ne_u32_e32 vcc, 0, v3
	v_cndmask_b32_e64 v1, -1, v2, s[4:5]
	v_cndmask_b32_e32 v3, v9, v5, vcc
	v_cmp_ne_u32_e64 s[4:5], 0, v1
	v_cndmask_b32_e32 v1, v8, v4, vcc
	v_cndmask_b32_e64 v25, v7, v3, s[4:5]
	v_cndmask_b32_e64 v24, v6, v1, s[4:5]
	s_waitcnt lgkmcnt(0)
	v_cmp_gt_u64_e32 vcc, s[52:53], v[24:25]
	s_and_saveexec_b64 s[52:53], vcc
	s_cbranch_execnz .LBB0_1
; %bb.132:
	s_getpc_b64 s[4:5]
.Lpost_getpc0:
	s_add_u32 s4, s4, (.LBB0_123-.Lpost_getpc0)&4294967295
	s_addc_u32 s5, s5, (.LBB0_123-.Lpost_getpc0)>>32
	s_setpc_b64 s[4:5]
.LBB0_1:
	s_add_u32 s4, 0, 0xaaa80000
	s_addc_u32 s5, 0, 0xaa
	s_add_i32 s5, s5, 0x2aaaaa00
	s_mul_hi_u32 s9, s4, -6
	s_sub_i32 s9, s9, s4
	s_mul_i32 s10, s5, -6
	s_mul_i32 s6, s4, -6
	s_add_i32 s9, s9, s10
	s_mul_hi_u32 s7, s5, s6
	s_mul_i32 s8, s5, s6
	s_mul_i32 s11, s4, s9
	s_mul_hi_u32 s6, s4, s6
	s_mul_hi_u32 s10, s4, s9
	s_add_u32 s6, s6, s11
	s_addc_u32 s10, 0, s10
	s_add_u32 s6, s6, s8
	s_mul_hi_u32 s11, s5, s9
	s_addc_u32 s6, s10, s7
	s_addc_u32 s7, s11, 0
	s_mul_i32 s8, s5, s9
	s_add_u32 s6, s6, s8
	v_mov_b32_e32 v1, s6
	s_addc_u32 s7, 0, s7
	v_add_co_u32_e32 v1, vcc, s4, v1
	s_cmp_lg_u64 vcc, 0
	s_addc_u32 s6, s5, s7
	v_mad_u64_u32 v[2:3], s[4:5], v0, s6, 0
	v_mul_hi_u32 v4, v0, v1
	v_add_co_u32_e32 v6, vcc, v4, v2
	v_addc_co_u32_e32 v7, vcc, 0, v3, vcc
	v_mad_u64_u32 v[4:5], s[4:5], s57, v1, 0
	v_mov_b32_e32 v8, s57
	v_add_co_u32_e32 v1, vcc, v6, v4
	v_mad_u64_u32 v[2:3], s[4:5], v8, s6, 0
	v_addc_co_u32_e32 v1, vcc, v7, v5, vcc
	v_addc_co_u32_e32 v3, vcc, 0, v3, vcc
	v_add_co_u32_e32 v1, vcc, v1, v2
	v_addc_co_u32_e32 v6, vcc, 0, v3, vcc
	v_mad_u64_u32 v[2:3], s[4:5], v1, 6, 0
	v_mov_b32_e32 v4, v3
	v_mad_u64_u32 v[4:5], s[4:5], v6, 6, v[4:5]
	v_sub_co_u32_e32 v2, vcc, v0, v2
	v_subb_co_u32_e32 v3, vcc, v8, v4, vcc
	v_subrev_co_u32_e32 v4, vcc, 6, v2
	v_subbrev_co_u32_e32 v5, vcc, 0, v3, vcc
	v_cmp_lt_u32_e32 vcc, 5, v4
	v_cndmask_b32_e64 v4, 0, -1, vcc
	v_cmp_eq_u32_e32 vcc, 0, v5
	v_cndmask_b32_e32 v4, -1, v4, vcc
	v_add_co_u32_e32 v5, vcc, 2, v1
	v_addc_co_u32_e32 v7, vcc, 0, v6, vcc
	v_add_co_u32_e32 v8, vcc, 1, v1
	v_cmp_lt_u32_e64 s[4:5], 5, v2
	v_addc_co_u32_e32 v9, vcc, 0, v6, vcc
	v_cndmask_b32_e64 v2, 0, -1, s[4:5]
	v_cmp_eq_u32_e64 s[4:5], 0, v3
	v_cmp_ne_u32_e32 vcc, 0, v4
	v_cndmask_b32_e64 v2, -1, v2, s[4:5]
	v_cmp_ne_u32_e64 s[4:5], 0, v2
	v_cndmask_b32_e32 v2, v8, v5, vcc
	v_cndmask_b32_e32 v4, v9, v7, vcc
	v_cndmask_b32_e64 v8, v1, v2, s[4:5]
	v_cndmask_b32_e64 v7, v6, v4, s[4:5]
	v_mad_u64_u32 v[2:3], s[4:5], v8, 6, 0
	v_mov_b32_e32 v4, v3
	v_mad_u64_u32 v[4:5], s[4:5], v7, 6, v[4:5]
	v_mov_b32_e32 v1, v4
	v_mov_b32_e32 v3, s57
	v_sub_co_u32_e32 v0, vcc, v0, v2
	v_subb_co_u32_e32 v1, vcc, v3, v1, vcc
	v_lshlrev_b64 v[2:3], 2, v[0:1]
	s_getpc_b64 s[4:5]
	s_add_u32 s4, s4, __const._ZN8rajaperf14hex_intsc_subzEPKdS1_iiRdS2_S2_S2_.vert_cyc@rel32@lo+4
	s_addc_u32 s5, s5, __const._ZN8rajaperf14hex_intsc_subzEPKdS1_iiRdS2_S2_S2_.vert_cyc@rel32@hi+12
	v_mov_b32_e32 v4, s5
	v_add_co_u32_e32 v2, vcc, s4, v2
	v_addc_co_u32_e32 v3, vcc, v3, v4, vcc
	v_cmp_gt_u64_e32 vcc, 5, v[0:1]
	v_not_b32_e32 v0, 19
	v_cndmask_b32_e64 v0, v0, 4, vcc
	v_cndmask_b32_e64 v1, -1, 0, vcc
	v_add_co_u32_e32 v0, vcc, v2, v0
	v_addc_co_u32_e32 v1, vcc, v3, v1, vcc
	global_load_dword v4, v[2:3], off
	global_load_dword v6, v[0:1], off
	s_mov_b32 s6, 0x55555555
	s_mov_b32 s7, 0x15555555
	v_mad_u64_u32 v[2:3], s[4:5], v8, s7, 0
	v_mul_hi_u32 v5, v8, s6
	v_add_co_u32_e32 v5, vcc, v5, v2
	v_mad_u64_u32 v[0:1], s[4:5], v7, s6, 0
	v_addc_co_u32_e32 v9, vcc, 0, v3, vcc
	v_add_co_u32_e32 v0, vcc, v5, v0
	v_mad_u64_u32 v[2:3], s[4:5], v7, s7, 0
	v_addc_co_u32_e32 v0, vcc, v9, v1, vcc
	v_addc_co_u32_e32 v1, vcc, 0, v3, vcc
	v_add_co_u32_e32 v0, vcc, v0, v2
	v_addc_co_u32_e32 v3, vcc, 0, v1, vcc
	v_mad_u64_u32 v[0:1], s[4:5], v0, 12, 0
	v_mov_b32_e32 v2, v1
	v_mad_u64_u32 v[2:3], s[4:5], v3, 12, v[2:3]
	v_sub_co_u32_e32 v0, vcc, v8, v0
	v_subb_co_u32_e32 v1, vcc, v7, v2, vcc
	v_subrev_co_u32_e32 v2, vcc, 12, v0
	v_subbrev_co_u32_e32 v3, vcc, 0, v1, vcc
	v_subrev_co_u32_e32 v5, vcc, 12, v2
	v_subbrev_co_u32_e32 v7, vcc, 0, v3, vcc
	v_cmp_lt_u32_e32 vcc, 11, v2
	v_cndmask_b32_e64 v8, 0, -1, vcc
	v_cmp_eq_u32_e32 vcc, 0, v3
	v_cndmask_b32_e32 v8, -1, v8, vcc
	v_cmp_ne_u32_e32 vcc, 0, v8
	v_cmp_lt_u32_e64 s[4:5], 11, v0
	v_cndmask_b32_e32 v3, v3, v7, vcc
	v_cndmask_b32_e64 v7, 0, -1, s[4:5]
	v_cmp_eq_u32_e64 s[4:5], 0, v1
	v_cndmask_b32_e64 v7, -1, v7, s[4:5]
	v_cmp_ne_u32_e64 s[4:5], 0, v7
	v_cndmask_b32_e32 v2, v2, v5, vcc
	v_cndmask_b32_e64 v1, v1, v3, s[4:5]
	v_cndmask_b32_e64 v0, v0, v2, s[4:5]
	v_sub_u32_e32 v3, 12, v0
	v_cmp_gt_u64_e32 vcc, 6, v[0:1]
	v_add_u32_e32 v2, 1, v0
	v_sub_u32_e32 v5, 11, v0
	v_cndmask_b32_e32 v0, v3, v0, vcc
	v_lshlrev_b32_e32 v1, 2, v0
	s_getpc_b64 s[4:5]
	s_add_u32 s4, s4, __const._ZN8rajaperf14hex_intsc_subzEPKdS1_iiRdS2_S2_S2_.cyc_nod@rel32@lo+4
	s_addc_u32 s5, s5, __const._ZN8rajaperf14hex_intsc_subzEPKdS1_iiRdS2_S2_S2_.cyc_nod@rel32@hi+12
	v_cndmask_b32_e32 v0, v5, v2, vcc
	v_mov_b32_e32 v8, s50
	v_mov_b32_e32 v9, s51
	s_movk_i32 s6, 0xc0
	v_lshlrev_b32_e32 v3, 2, v0
	global_load_dword v0, v1, s[4:5]
	global_load_dword v2, v3, s[4:5]
	v_mul_lo_u32 v1, v25, s6
	v_mad_u64_u32 v[8:9], s[4:5], v24, s6, v[8:9]
	v_add_u32_e32 v9, v1, v9
	global_load_dwordx2 v[42:43], v[8:9], off
	v_mov_b32_e32 v167, -1
	v_mov_b32_e32 v166, -1
                                        ; implicit-def: $sgpr40_sgpr41
	s_waitcnt vmcnt(4)
	v_ashrrev_i32_e32 v5, 31, v4
	v_lshlrev_b64 v[4:5], 3, v[4:5]
	v_add_co_u32_e64 v4, s[4:5], v8, v4
	s_waitcnt vmcnt(3)
	v_ashrrev_i32_e32 v7, 31, v6
	v_addc_co_u32_e64 v5, s[4:5], v9, v5, s[4:5]
	v_lshlrev_b64 v[6:7], 3, v[6:7]
	v_add_co_u32_e64 v6, s[4:5], v8, v6
	v_addc_co_u32_e64 v7, s[4:5], v9, v7, s[4:5]
	s_mov_b32 s4, 0x48b00
	global_load_dwordx2 v[10:11], v[4:5], off
	global_load_dwordx2 v[12:13], v[6:7], off
	global_load_dwordx4 v[48:51], v[8:9], off offset:56
	global_load_dwordx2 v[14:15], v[4:5], off offset:64
	global_load_dwordx2 v[16:17], v[6:7], off offset:64
	global_load_dwordx4 v[44:47], v[8:9], off offset:120
	global_load_dwordx2 v[18:19], v[4:5], off offset:128
	global_load_dwordx2 v[20:21], v[6:7], off offset:128
	;; [unrolled: 1-line block ×3, first 2 shown]
	s_nop 0
	buffer_store_dword v24, off, s[0:3], s4 ; 4-byte Folded Spill
	s_nop 0
	buffer_store_dword v25, off, s[0:3], s4 offset:4 ; 4-byte Folded Spill
	v_mov_b32_e32 v4, s48
	v_mov_b32_e32 v5, s49
	v_cndmask_b32_e64 v6, 56, 0, vcc
	s_waitcnt vmcnt(12)
	v_ashrrev_i32_e32 v3, 31, v2
	v_lshlrev_b64 v[2:3], 3, v[2:3]
	s_waitcnt vmcnt(10)
	v_add_f64 v[64:65], v[10:11], -v[42:43]
	s_waitcnt vmcnt(9)
	v_add_f64 v[62:63], v[12:13], -v[42:43]
	;; [unrolled: 2-line block ×8, first 2 shown]
	v_mad_u64_u32 v[4:5], s[4:5], v24, s6, v[4:5]
	v_add_u32_e32 v5, v1, v5
	v_ashrrev_i32_e32 v1, 31, v0
	v_add_co_u32_e32 v6, vcc, v4, v6
	v_addc_co_u32_e32 v7, vcc, 0, v5, vcc
	v_lshlrev_b64 v[0:1], 3, v[0:1]
	v_add_co_u32_e32 v0, vcc, v4, v0
	v_addc_co_u32_e32 v1, vcc, v5, v1, vcc
	v_add_co_u32_e32 v2, vcc, v4, v2
	v_addc_co_u32_e32 v3, vcc, v5, v3, vcc
	global_load_dwordx2 v[8:9], v[6:7], off
	global_load_dwordx2 v[24:25], v[6:7], off offset:64
	global_load_dwordx2 v[26:27], v[0:1], off
	global_load_dwordx2 v[28:29], v[0:1], off offset:64
	;; [unrolled: 2-line block ×3, first 2 shown]
	global_load_dwordx2 v[36:37], v[6:7], off offset:128
	global_load_dwordx2 v[38:39], v[0:1], off offset:128
	;; [unrolled: 1-line block ×3, first 2 shown]
	v_mul_f64 v[2:3], v[64:65], v[54:55]
	s_waitcnt vmcnt(11)
	v_add_f64 v[44:45], v[22:23], -v[46:47]
	v_mul_f64 v[0:1], v[64:65], v[56:57]
	v_mul_f64 v[4:5], v[48:49], v[2:3]
	v_fma_f64 v[6:7], v[0:1], v[44:45], -v[4:5]
	v_mul_f64 v[4:5], v[62:63], v[54:55]
	v_fmac_f64_e32 v[6:7], v[52:53], v[4:5]
	v_mul_f64 v[4:5], v[58:59], v[62:63]
	v_fma_f64 v[6:7], -v[4:5], v[44:45], v[6:7]
	v_mul_f64 v[10:11], v[58:59], v[60:61]
	v_fmac_f64_e32 v[6:7], v[48:49], v[10:11]
	v_mul_f64 v[18:19], v[56:57], v[60:61]
	v_fma_f64 v[20:21], -v[52:53], v[18:19], v[6:7]
	v_mov_b32_e32 v6, 0xe48e0530
	v_mov_b32_e32 v7, 0x2b2bff2e
	v_fmac_f64_e32 v[6:7], v[20:21], v[20:21]
	v_div_scale_f64 v[10:11], s[4:5], v[6:7], v[6:7], v[20:21]
	v_rcp_f64_e32 v[12:13], v[10:11]
	s_mov_b32 s4, 0x4a100
	v_fma_f64 v[14:15], -v[10:11], v[12:13], 1.0
	v_fmac_f64_e32 v[12:13], v[12:13], v[14:15]
	v_fma_f64 v[14:15], -v[10:11], v[12:13], 1.0
	v_fmac_f64_e32 v[12:13], v[12:13], v[14:15]
	v_div_scale_f64 v[14:15], vcc, v[20:21], v[6:7], v[20:21]
	buffer_store_dword v20, off, s[0:3], s4 ; 4-byte Folded Spill
	s_nop 0
	buffer_store_dword v21, off, s[0:3], s4 offset:4 ; 4-byte Folded Spill
	v_mul_f64 v[16:17], v[14:15], v[12:13]
	v_fma_f64 v[10:11], -v[10:11], v[16:17], v[14:15]
	v_div_fmas_f64 v[10:11], v[10:11], v[12:13], v[16:17]
	s_mov_b32 s4, 0x48d00
	v_pk_mov_b32 v[12:13], v[50:51], v[50:51] op_sel:[0,1]
	s_waitcnt vmcnt(9)
	v_add_f64 v[16:17], v[24:25], -v[50:51]
	s_waitcnt vmcnt(7)
	v_add_f64 v[14:15], v[28:29], -v[50:51]
	v_div_fixup_f64 v[30:31], v[10:11], v[6:7], v[20:21]
	v_add_f64 v[10:11], v[8:9], -v[42:43]
	v_add_f64 v[8:9], v[26:27], -v[42:43]
	buffer_store_dword v42, off, s[0:3], s4 ; 4-byte Folded Spill
	s_nop 0
	buffer_store_dword v43, off, s[0:3], s4 offset:4 ; 4-byte Folded Spill
	v_mul_f64 v[6:7], v[48:49], v[54:55]
	v_fma_f64 v[20:21], v[56:57], v[44:45], -v[6:7]
	v_mul_f64 v[6:7], v[62:63], v[44:45]
	v_fma_f64 v[22:23], v[48:49], v[60:61], -v[6:7]
	v_mul_f64 v[24:25], v[16:17], v[22:23]
	s_mov_b32 s4, 0x49300
	v_fmac_f64_e32 v[24:25], v[10:11], v[20:21]
	buffer_store_dword v10, off, s[0:3], s4 ; 4-byte Folded Spill
	s_nop 0
	buffer_store_dword v11, off, s[0:3], s4 offset:4 ; 4-byte Folded Spill
	buffer_store_dword v12, off, s[0:3], s4 offset:8 ; 4-byte Folded Spill
	buffer_store_dword v13, off, s[0:3], s4 offset:12 ; 4-byte Folded Spill
	s_waitcnt vmcnt(11)
	v_add_f64 v[12:13], v[34:35], -v[50:51]
	s_mov_b32 s4, 0x48f00
	v_mul_f64 v[26:27], v[14:15], v[22:23]
	v_mul_f64 v[28:29], v[12:13], v[22:23]
	v_fmac_f64_e32 v[26:27], v[8:9], v[20:21]
	s_waitcnt vmcnt(10)
	v_add_f64 v[22:23], v[36:37], -v[46:47]
	v_mul_f64 v[34:35], v[52:53], v[60:61]
	v_add_f64 v[6:7], v[32:33], -v[42:43]
	v_fma_f64 v[32:33], v[62:63], v[54:55], -v[18:19]
	v_pk_mov_b32 v[18:19], v[46:47], v[46:47] op_sel:[0,1]
	buffer_store_dword v16, off, s[0:3], s4 ; 4-byte Folded Spill
	s_nop 0
	buffer_store_dword v17, off, s[0:3], s4 offset:4 ; 4-byte Folded Spill
	buffer_store_dword v18, off, s[0:3], s4 offset:8 ; 4-byte Folded Spill
	;; [unrolled: 1-line block ×3, first 2 shown]
	s_mov_b32 s4, 0x49d00
	v_fmac_f64_e32 v[28:29], v[6:7], v[20:21]
	s_waitcnt vmcnt(13)
	v_add_f64 v[20:21], v[38:39], -v[46:47]
	s_waitcnt vmcnt(12)
	v_add_f64 v[18:19], v[40:41], -v[46:47]
	buffer_store_dword v54, off, s[0:3], s4 ; 4-byte Folded Spill
	s_nop 0
	buffer_store_dword v55, off, s[0:3], s4 offset:4 ; 4-byte Folded Spill
	s_mov_b32 s4, 0x49700
	v_fmac_f64_e32 v[24:25], v[22:23], v[32:33]
	v_fmac_f64_e32 v[26:27], v[20:21], v[32:33]
	;; [unrolled: 1-line block ×3, first 2 shown]
	v_mul_f64 v[32:33], v[58:59], v[44:45]
	buffer_store_dword v44, off, s[0:3], s4 ; 4-byte Folded Spill
	s_nop 0
	buffer_store_dword v45, off, s[0:3], s4 offset:4 ; 4-byte Folded Spill
	s_mov_b32 s4, 0x4a500
	buffer_store_dword v60, off, s[0:3], s4 ; 4-byte Folded Spill
	s_nop 0
	buffer_store_dword v61, off, s[0:3], s4 offset:4 ; 4-byte Folded Spill
	s_mov_b32 s4, 0x48900
	v_fma_f64 v[32:33], v[52:53], v[54:55], -v[32:33]
	v_fma_f64 v[34:35], v[64:65], v[44:45], -v[34:35]
	v_mul_f64 v[36:37], v[16:17], v[34:35]
	v_mul_f64 v[38:39], v[14:15], v[34:35]
	;; [unrolled: 1-line block ×3, first 2 shown]
	v_fmac_f64_e32 v[36:37], v[10:11], v[32:33]
	v_fmac_f64_e32 v[38:39], v[8:9], v[32:33]
	;; [unrolled: 1-line block ×3, first 2 shown]
	v_fma_f64 v[2:3], v[58:59], v[60:61], -v[2:3]
	v_fmac_f64_e32 v[36:37], v[22:23], v[2:3]
	v_fmac_f64_e32 v[38:39], v[20:21], v[2:3]
	;; [unrolled: 1-line block ×3, first 2 shown]
	v_mov_b32_e32 v2, 2
	buffer_store_dword v2, off, s[0:3], 0 offset:60
	v_mov_b32_e32 v2, 1
	buffer_store_dword v2, off, s[0:3], 0 offset:56
	;; [unrolled: 2-line block ×8, first 2 shown]
	v_mul_f64 v[2:3], v[24:25], v[30:31]
	buffer_store_dword v2, off, s[0:3], s4  ; 4-byte Folded Spill
	s_nop 0
	buffer_store_dword v3, off, s[0:3], s4 offset:4 ; 4-byte Folded Spill
	v_fma_f64 v[2:3], -v[24:25], v[30:31], 1.0
	v_fma_f64 v[40:41], -v[36:37], v[30:31], v[2:3]
	v_mul_f64 v[2:3], v[36:37], v[30:31]
	s_mov_b32 s4, 0x48300
	buffer_store_dword v2, off, s[0:3], s4  ; 4-byte Folded Spill
	s_nop 0
	buffer_store_dword v3, off, s[0:3], s4 offset:4 ; 4-byte Folded Spill
	v_mul_f64 v[2:3], v[26:27], v[30:31]
	s_mov_b32 s4, 0x48700
	buffer_store_dword v2, off, s[0:3], s4  ; 4-byte Folded Spill
	s_nop 0
	buffer_store_dword v3, off, s[0:3], s4 offset:4 ; 4-byte Folded Spill
	v_fma_f64 v[2:3], -v[26:27], v[30:31], 1.0
	v_fma_f64 v[24:25], -v[38:39], v[30:31], v[2:3]
	v_mul_f64 v[2:3], v[38:39], v[30:31]
	s_mov_b32 s4, 0x48100
	buffer_store_dword v2, off, s[0:3], s4  ; 4-byte Folded Spill
	s_nop 0
	buffer_store_dword v3, off, s[0:3], s4 offset:4 ; 4-byte Folded Spill
	v_mul_f64 v[2:3], v[28:29], v[30:31]
	s_mov_b32 s4, 0x48500
	buffer_store_dword v2, off, s[0:3], s4  ; 4-byte Folded Spill
	s_nop 0
	buffer_store_dword v3, off, s[0:3], s4 offset:4 ; 4-byte Folded Spill
	v_fma_f64 v[2:3], -v[28:29], v[30:31], 1.0
	v_fma_f64 v[26:27], -v[34:35], v[30:31], v[2:3]
	v_mul_f64 v[2:3], v[34:35], v[30:31]
	s_mov_b32 s4, 0x47f00
	buffer_store_dword v2, off, s[0:3], s4  ; 4-byte Folded Spill
	s_nop 0
	buffer_store_dword v3, off, s[0:3], s4 offset:4 ; 4-byte Folded Spill
	buffer_store_dword v41, off, s[0:3], 0 offset:20
	buffer_store_dword v40, off, s[0:3], 0 offset:16
	;; [unrolled: 1-line block ×8, first 2 shown]
	s_mov_b32 s4, 0x45d00
	buffer_load_dword v2, off, s[0:3], s4   ; 4-byte Folded Reload
	buffer_load_dword v3, off, s[0:3], s4 offset:4 ; 4-byte Folded Reload
	v_mov_b32_e32 v32, 16
	v_add_u32_e32 v38, 40, v32
	s_waitcnt vmcnt(1)
	v_mov_b32_e32 v2, -1
	v_pk_mov_b32 v[28:29], v[40:41], v[40:41] op_sel:[0,1]
	s_waitcnt vmcnt(0)
	v_mov_b32_e32 v33, v3
	v_mov_b32_e32 v3, -1
.LBB0_2:                                ; =>This Inner Loop Header: Depth=1
	v_lshl_add_u32 v34, v33, 2, v38
	buffer_load_dword v36, v34, s[0:3], 0 offen
	v_cmp_le_f64_e32 vcc, 0, v[28:29]
	v_cmp_gt_f64_e64 s[4:5], 0, v[28:29]
	s_waitcnt vmcnt(0)
	v_max_i32_e32 v37, 0, v36
	v_lshl_add_u32 v35, v37, 3, v32
	buffer_load_dword v34, v35, s[0:3], 0 offen
	s_nop 0
	buffer_load_dword v35, v35, s[0:3], 0 offen offset:4
	v_cmp_gt_i32_e64 s[6:7], 0, v36
	s_waitcnt vmcnt(0)
	v_cmp_gt_f64_e64 s[8:9], 0, v[34:35]
	v_cmp_le_f64_e64 s[10:11], 0, v[34:35]
	s_and_b64 vcc, vcc, s[8:9]
	s_and_b64 s[8:9], s[4:5], s[10:11]
	s_or_b64 s[12:13], s[6:7], s[12:13]
	s_andn2_b64 s[6:7], s[40:41], exec
	s_and_b64 s[4:5], s[4:5], exec
	v_pk_mov_b32 v[28:29], v[34:35], v[34:35] op_sel:[0,1]
	v_cndmask_b32_e32 v3, v3, v37, vcc
	v_cndmask_b32_e64 v166, v166, v37, s[8:9]
	v_cndmask_b32_e32 v167, v167, v33, vcc
	v_cndmask_b32_e64 v2, v2, v33, s[8:9]
	v_mov_b32_e32 v33, v36
	s_or_b64 s[40:41], s[6:7], s[4:5]
	s_andn2_b64 exec, exec, s[12:13]
	s_cbranch_execnz .LBB0_2
; %bb.3:
	s_or_b64 exec, exec, s[12:13]
	s_mov_b32 s4, 0x49f00
	buffer_store_dword v38, off, s[0:3], 0 offset:112 ; 4-byte Folded Spill
	buffer_store_dword v56, off, s[0:3], s4 ; 4-byte Folded Spill
	s_nop 0
	buffer_store_dword v57, off, s[0:3], s4 offset:4 ; 4-byte Folded Spill
	s_mov_b32 s4, 0x4a300
	buffer_store_dword v58, off, s[0:3], s4 ; 4-byte Folded Spill
	s_nop 0
	buffer_store_dword v59, off, s[0:3], s4 offset:4 ; 4-byte Folded Spill
	s_mov_b32 s4, 0x49900
	v_add_f64 v[0:1], v[0:1], -v[4:5]
	v_mov_b32_e32 v42, -1
	v_mul_f64 v[28:29], v[52:53], v[56:57]
	v_fma_f64 v[28:29], v[58:59], v[48:49], -v[28:29]
	buffer_store_dword v48, off, s[0:3], s4 ; 4-byte Folded Spill
	s_nop 0
	buffer_store_dword v49, off, s[0:3], s4 offset:4 ; 4-byte Folded Spill
	s_mov_b32 s4, 0x4a900
	buffer_store_dword v64, off, s[0:3], s4 ; 4-byte Folded Spill
	s_nop 0
	buffer_store_dword v65, off, s[0:3], s4 offset:4 ; 4-byte Folded Spill
	s_mov_b32 s4, 0x49b00
	;; [unrolled: 4-line block ×3, first 2 shown]
	buffer_store_dword v62, off, s[0:3], s4 ; 4-byte Folded Spill
	s_nop 0
	buffer_store_dword v63, off, s[0:3], s4 offset:4 ; 4-byte Folded Spill
	v_cmp_lt_i32_e64 s[4:5], -1, v167
	v_mul_f64 v[32:33], v[64:65], v[48:49]
	v_fma_f64 v[32:33], v[52:53], v[62:63], -v[32:33]
	v_mul_f64 v[4:5], v[16:17], v[32:33]
	v_fmac_f64_e32 v[4:5], v[10:11], v[28:29]
	v_mul_f64 v[10:11], v[14:15], v[32:33]
	v_fmac_f64_e32 v[10:11], v[8:9], v[28:29]
	;; [unrolled: 2-line block ×3, first 2 shown]
	v_fmac_f64_e32 v[4:5], v[22:23], v[0:1]
	v_fmac_f64_e32 v[10:11], v[20:21], v[0:1]
	;; [unrolled: 1-line block ×3, first 2 shown]
	v_mul_f64 v[0:1], v[4:5], v[30:31]
	v_mul_f64 v[158:159], v[8:9], v[30:31]
	v_fma_f64 v[162:163], -v[4:5], v[30:31], v[40:41]
	v_fma_f64 v[160:161], -v[10:11], v[30:31], v[24:25]
	;; [unrolled: 1-line block ×3, first 2 shown]
	v_mov_b32_e32 v4, -1
	v_mov_b32_e32 v5, -1
	v_mul_f64 v[6:7], v[10:11], v[30:31]
	s_mov_b64 s[42:43], exec
                                        ; implicit-def: $vgpr8_vgpr9_vgpr10_vgpr11_vgpr12_vgpr13_vgpr14_vgpr15_vgpr16_vgpr17_vgpr18_vgpr19_vgpr20_vgpr21_vgpr22_vgpr23_vgpr24_vgpr25_vgpr26_vgpr27_vgpr28_vgpr29_vgpr30_vgpr31_vgpr32_vgpr33_vgpr34_vgpr35_vgpr36_vgpr37_vgpr38_vgpr39
                                        ; kill: killed $vgpr8_vgpr9_vgpr10_vgpr11_vgpr12_vgpr13_vgpr14_vgpr15_vgpr16_vgpr17_vgpr18_vgpr19_vgpr20_vgpr21_vgpr22_vgpr23_vgpr24_vgpr25_vgpr26_vgpr27_vgpr28_vgpr29_vgpr30_vgpr31_vgpr32_vgpr33_vgpr34_vgpr35_vgpr36_vgpr37_vgpr38_vgpr39
                                        ; implicit-def: $vgpr126_vgpr127_vgpr128_vgpr129_vgpr130_vgpr131_vgpr132_vgpr133_vgpr134_vgpr135_vgpr136_vgpr137_vgpr138_vgpr139_vgpr140_vgpr141_vgpr142_vgpr143_vgpr144_vgpr145_vgpr146_vgpr147_vgpr148_vgpr149_vgpr150_vgpr151_vgpr152_vgpr153_vgpr154_vgpr155_vgpr156_vgpr157
                                        ; implicit-def: $vgpr94_vgpr95_vgpr96_vgpr97_vgpr98_vgpr99_vgpr100_vgpr101_vgpr102_vgpr103_vgpr104_vgpr105_vgpr106_vgpr107_vgpr108_vgpr109_vgpr110_vgpr111_vgpr112_vgpr113_vgpr114_vgpr115_vgpr116_vgpr117_vgpr118_vgpr119_vgpr120_vgpr121_vgpr122_vgpr123_vgpr124_vgpr125
	s_and_b64 s[6:7], s[42:43], s[4:5]
                                        ; implicit-def: $vgpr8_vgpr9_vgpr10_vgpr11_vgpr12_vgpr13_vgpr14_vgpr15_vgpr16_vgpr17_vgpr18_vgpr19_vgpr20_vgpr21_vgpr22_vgpr23_vgpr24_vgpr25_vgpr26_vgpr27_vgpr28_vgpr29_vgpr30_vgpr31_vgpr32_vgpr33_vgpr34_vgpr35_vgpr36_vgpr37_vgpr38_vgpr39
                                        ; kill: killed $vgpr8_vgpr9_vgpr10_vgpr11_vgpr12_vgpr13_vgpr14_vgpr15_vgpr16_vgpr17_vgpr18_vgpr19_vgpr20_vgpr21_vgpr22_vgpr23_vgpr24_vgpr25_vgpr26_vgpr27_vgpr28_vgpr29_vgpr30_vgpr31_vgpr32_vgpr33_vgpr34_vgpr35_vgpr36_vgpr37_vgpr38_vgpr39
	v_pk_mov_b32 v[136:137], v[6:7], v[6:7] op_sel:[0,1]
                                        ; implicit-def: $vgpr8_vgpr9_vgpr10_vgpr11_vgpr12_vgpr13_vgpr14_vgpr15_vgpr16_vgpr17_vgpr18_vgpr19_vgpr20_vgpr21_vgpr22_vgpr23_vgpr24_vgpr25_vgpr26_vgpr27_vgpr28_vgpr29_vgpr30_vgpr31_vgpr32_vgpr33_vgpr34_vgpr35_vgpr36_vgpr37_vgpr38_vgpr39
                                        ; kill: killed $vgpr8_vgpr9_vgpr10_vgpr11_vgpr12_vgpr13_vgpr14_vgpr15_vgpr16_vgpr17_vgpr18_vgpr19_vgpr20_vgpr21_vgpr22_vgpr23_vgpr24_vgpr25_vgpr26_vgpr27_vgpr28_vgpr29_vgpr30_vgpr31_vgpr32_vgpr33_vgpr34_vgpr35_vgpr36_vgpr37_vgpr38_vgpr39
	v_pk_mov_b32 v[152:153], v[0:1], v[0:1] op_sel:[0,1]
                                        ; implicit-def: $vgpr8_vgpr9_vgpr10_vgpr11_vgpr12_vgpr13_vgpr14_vgpr15_vgpr16_vgpr17_vgpr18_vgpr19_vgpr20_vgpr21_vgpr22_vgpr23_vgpr24_vgpr25_vgpr26_vgpr27_vgpr28_vgpr29_vgpr30_vgpr31_vgpr32_vgpr33_vgpr34_vgpr35_vgpr36_vgpr37_vgpr38_vgpr39
                                        ; kill: killed $vgpr8_vgpr9_vgpr10_vgpr11_vgpr12_vgpr13_vgpr14_vgpr15_vgpr16_vgpr17_vgpr18_vgpr19_vgpr20_vgpr21_vgpr22_vgpr23_vgpr24_vgpr25_vgpr26_vgpr27_vgpr28_vgpr29_vgpr30_vgpr31_vgpr32_vgpr33_vgpr34_vgpr35_vgpr36_vgpr37_vgpr38_vgpr39
                                        ; implicit-def: $vgpr68_vgpr69_vgpr70_vgpr71_vgpr72_vgpr73_vgpr74_vgpr75_vgpr76_vgpr77_vgpr78_vgpr79_vgpr80_vgpr81_vgpr82_vgpr83_vgpr84_vgpr85_vgpr86_vgpr87_vgpr88_vgpr89_vgpr90_vgpr91_vgpr92_vgpr93_vgpr94_vgpr95_vgpr96_vgpr97_vgpr98_vgpr99
                                        ; implicit-def: $vgpr102_vgpr103_vgpr104_vgpr105_vgpr106_vgpr107_vgpr108_vgpr109_vgpr110_vgpr111_vgpr112_vgpr113_vgpr114_vgpr115_vgpr116_vgpr117_vgpr118_vgpr119_vgpr120_vgpr121_vgpr122_vgpr123_vgpr124_vgpr125_vgpr126_vgpr127_vgpr128_vgpr129_vgpr130_vgpr131_vgpr132_vgpr133
                                        ; implicit-def: $vgpr44_vgpr45_vgpr46_vgpr47_vgpr48_vgpr49_vgpr50_vgpr51_vgpr52_vgpr53_vgpr54_vgpr55_vgpr56_vgpr57_vgpr58_vgpr59_vgpr60_vgpr61_vgpr62_vgpr63_vgpr64_vgpr65_vgpr66_vgpr67_vgpr68_vgpr69_vgpr70_vgpr71_vgpr72_vgpr73_vgpr74_vgpr75
                                        ; implicit-def: $vgpr8_vgpr9_vgpr10_vgpr11_vgpr12_vgpr13_vgpr14_vgpr15_vgpr16_vgpr17_vgpr18_vgpr19_vgpr20_vgpr21_vgpr22_vgpr23_vgpr24_vgpr25_vgpr26_vgpr27_vgpr28_vgpr29_vgpr30_vgpr31_vgpr32_vgpr33_vgpr34_vgpr35_vgpr36_vgpr37_vgpr38_vgpr39
                                        ; kill: killed $vgpr8_vgpr9_vgpr10_vgpr11_vgpr12_vgpr13_vgpr14_vgpr15_vgpr16_vgpr17_vgpr18_vgpr19_vgpr20_vgpr21_vgpr22_vgpr23_vgpr24_vgpr25_vgpr26_vgpr27_vgpr28_vgpr29_vgpr30_vgpr31_vgpr32_vgpr33_vgpr34_vgpr35_vgpr36_vgpr37_vgpr38_vgpr39
                                        ; kill: killed $vgpr44_vgpr45_vgpr46_vgpr47_vgpr48_vgpr49_vgpr50_vgpr51_vgpr52_vgpr53_vgpr54_vgpr55_vgpr56_vgpr57_vgpr58_vgpr59_vgpr60_vgpr61_vgpr62_vgpr63_vgpr64_vgpr65_vgpr66_vgpr67_vgpr68_vgpr69_vgpr70_vgpr71_vgpr72_vgpr73_vgpr74_vgpr75
                                        ; implicit-def: $vgpr8_vgpr9_vgpr10_vgpr11_vgpr12_vgpr13_vgpr14_vgpr15_vgpr16_vgpr17_vgpr18_vgpr19_vgpr20_vgpr21_vgpr22_vgpr23_vgpr24_vgpr25_vgpr26_vgpr27_vgpr28_vgpr29_vgpr30_vgpr31_vgpr32_vgpr33_vgpr34_vgpr35_vgpr36_vgpr37_vgpr38_vgpr39
                                        ; kill: killed $vgpr8_vgpr9_vgpr10_vgpr11_vgpr12_vgpr13_vgpr14_vgpr15_vgpr16_vgpr17_vgpr18_vgpr19_vgpr20_vgpr21_vgpr22_vgpr23_vgpr24_vgpr25_vgpr26_vgpr27_vgpr28_vgpr29_vgpr30_vgpr31_vgpr32_vgpr33_vgpr34_vgpr35_vgpr36_vgpr37_vgpr38_vgpr39
                                        ; implicit-def: $vgpr8_vgpr9_vgpr10_vgpr11_vgpr12_vgpr13_vgpr14_vgpr15_vgpr16_vgpr17_vgpr18_vgpr19_vgpr20_vgpr21_vgpr22_vgpr23_vgpr24_vgpr25_vgpr26_vgpr27_vgpr28_vgpr29_vgpr30_vgpr31_vgpr32_vgpr33_vgpr34_vgpr35_vgpr36_vgpr37_vgpr38_vgpr39
                                        ; kill: killed $vgpr8_vgpr9_vgpr10_vgpr11_vgpr12_vgpr13_vgpr14_vgpr15_vgpr16_vgpr17_vgpr18_vgpr19_vgpr20_vgpr21_vgpr22_vgpr23_vgpr24_vgpr25_vgpr26_vgpr27_vgpr28_vgpr29_vgpr30_vgpr31_vgpr32_vgpr33_vgpr34_vgpr35_vgpr36_vgpr37_vgpr38_vgpr39
                                        ; implicit-def: $vgpr8_vgpr9_vgpr10_vgpr11_vgpr12_vgpr13_vgpr14_vgpr15_vgpr16_vgpr17_vgpr18_vgpr19_vgpr20_vgpr21_vgpr22_vgpr23_vgpr24_vgpr25_vgpr26_vgpr27_vgpr28_vgpr29_vgpr30_vgpr31_vgpr32_vgpr33_vgpr34_vgpr35_vgpr36_vgpr37_vgpr38_vgpr39
                                        ; kill: killed $vgpr8_vgpr9_vgpr10_vgpr11_vgpr12_vgpr13_vgpr14_vgpr15_vgpr16_vgpr17_vgpr18_vgpr19_vgpr20_vgpr21_vgpr22_vgpr23_vgpr24_vgpr25_vgpr26_vgpr27_vgpr28_vgpr29_vgpr30_vgpr31_vgpr32_vgpr33_vgpr34_vgpr35_vgpr36_vgpr37_vgpr38_vgpr39
                                        ; implicit-def: $vgpr6_vgpr7_vgpr8_vgpr9_vgpr10_vgpr11_vgpr12_vgpr13_vgpr14_vgpr15_vgpr16_vgpr17_vgpr18_vgpr19_vgpr20_vgpr21_vgpr22_vgpr23_vgpr24_vgpr25_vgpr26_vgpr27_vgpr28_vgpr29_vgpr30_vgpr31_vgpr32_vgpr33_vgpr34_vgpr35_vgpr36_vgpr37
                                        ; kill: killed $vgpr6_vgpr7_vgpr8_vgpr9_vgpr10_vgpr11_vgpr12_vgpr13_vgpr14_vgpr15_vgpr16_vgpr17_vgpr18_vgpr19_vgpr20_vgpr21_vgpr22_vgpr23_vgpr24_vgpr25_vgpr26_vgpr27_vgpr28_vgpr29_vgpr30_vgpr31_vgpr32_vgpr33_vgpr34_vgpr35_vgpr36_vgpr37
                                        ; implicit-def: $vgpr6_vgpr7_vgpr8_vgpr9_vgpr10_vgpr11_vgpr12_vgpr13_vgpr14_vgpr15_vgpr16_vgpr17_vgpr18_vgpr19_vgpr20_vgpr21_vgpr22_vgpr23_vgpr24_vgpr25_vgpr26_vgpr27_vgpr28_vgpr29_vgpr30_vgpr31_vgpr32_vgpr33_vgpr34_vgpr35_vgpr36_vgpr37
                                        ; kill: killed $vgpr6_vgpr7_vgpr8_vgpr9_vgpr10_vgpr11_vgpr12_vgpr13_vgpr14_vgpr15_vgpr16_vgpr17_vgpr18_vgpr19_vgpr20_vgpr21_vgpr22_vgpr23_vgpr24_vgpr25_vgpr26_vgpr27_vgpr28_vgpr29_vgpr30_vgpr31_vgpr32_vgpr33_vgpr34_vgpr35_vgpr36_vgpr37
	;; [unrolled: 2-line block ×26, first 2 shown]
                                        ; implicit-def: $vgpr6_vgpr7_vgpr8_vgpr9_vgpr10_vgpr11_vgpr12_vgpr13_vgpr14_vgpr15_vgpr16_vgpr17_vgpr18_vgpr19_vgpr20_vgpr21_vgpr22_vgpr23_vgpr24_vgpr25_vgpr26_vgpr27_vgpr28_vgpr29_vgpr30_vgpr31_vgpr32_vgpr33_vgpr34_vgpr35_vgpr36_vgpr37
	s_mov_b64 exec, s[6:7]
	s_cbranch_execz .LBB0_5
; %bb.4:
	v_mov_b32_e32 v8, 16
	v_lshl_add_u32 v9, v3, 3, v8
	s_mov_b32 s8, 0x48700
	v_lshl_add_u32 v10, v167, 3, v8
	buffer_load_dword v6, v9, s[0:3], 0 offen
	buffer_load_dword v7, v9, s[0:3], 0 offen offset:4
	buffer_load_dword v4, v10, s[0:3], 0 offen
	buffer_load_dword v5, v10, s[0:3], 0 offen offset:4
	buffer_load_dword v30, off, s[0:3], s8  ; 4-byte Folded Reload
	buffer_load_dword v31, off, s[0:3], s8 offset:4 ; 4-byte Folded Reload
	s_mov_b32 s8, 0x48900
	s_mov_b32 s10, 0x48500
	;; [unrolled: 1-line block ×3, first 2 shown]
	buffer_load_dword v32, off, s[0:3], s8  ; 4-byte Folded Reload
	buffer_load_dword v33, off, s[0:3], s8 offset:4 ; 4-byte Folded Reload
	buffer_load_dword v28, off, s[0:3], s10 ; 4-byte Folded Reload
	buffer_load_dword v29, off, s[0:3], s10 offset:4 ; 4-byte Folded Reload
	buffer_load_dword v38, off, s[0:3], s14 ; 4-byte Folded Reload
	buffer_load_dword v39, off, s[0:3], s14 offset:4 ; 4-byte Folded Reload
	s_mov_b32 s14, 0x48300
	v_pk_mov_b32 v[0:1], v[40:41], v[40:41] op_sel:[0,1]
	buffer_load_dword v40, off, s[0:3], s14 ; 4-byte Folded Reload
	buffer_load_dword v41, off, s[0:3], s14 offset:4 ; 4-byte Folded Reload
	s_mov_b32 s18, 0x47f00
	buffer_load_dword v36, off, s[0:3], s18 ; 4-byte Folded Reload
	buffer_load_dword v37, off, s[0:3], s18 offset:4 ; 4-byte Folded Reload
	v_cmp_eq_u32_e64 s[6:7], 1, v167
	v_cmp_eq_u32_e64 s[8:9], 1, v3
	;; [unrolled: 1-line block ×6, first 2 shown]
	v_lshl_add_u32 v16, v2, 3, v8
	v_lshl_add_u32 v17, v166, 3, v8
	v_cmp_eq_u32_e64 s[22:23], 4, v167
	v_cmp_eq_u32_e64 s[18:19], 4, v3
	;; [unrolled: 1-line block ×10, first 2 shown]
	s_mov_b32 s33, 0x45f00
                                        ; implicit-def: $vgpr102_vgpr103_vgpr104_vgpr105_vgpr106_vgpr107_vgpr108_vgpr109_vgpr110_vgpr111_vgpr112_vgpr113_vgpr114_vgpr115_vgpr116_vgpr117_vgpr118_vgpr119_vgpr120_vgpr121_vgpr122_vgpr123_vgpr124_vgpr125_vgpr126_vgpr127_vgpr128_vgpr129_vgpr130_vgpr131_vgpr132_vgpr133
	s_waitcnt vmcnt(12)
	v_add_f64 v[4:5], v[4:5], -v[6:7]
	s_waitcnt vmcnt(8)
	v_cndmask_b32_e64 v9, v33, v31, s[6:7]
	v_cndmask_b32_e64 v10, v33, v31, s[8:9]
	s_waitcnt vmcnt(6)
	v_cndmask_b32_e64 v9, v9, v29, s[12:13]
	v_cndmask_b32_e64 v11, v32, v30, s[6:7]
	;; [unrolled: 1-line block ×3, first 2 shown]
	s_waitcnt vmcnt(2)
	v_cndmask_b32_e64 v13, v41, v39, s[6:7]
	v_cndmask_b32_e64 v15, v41, v39, s[8:9]
	;; [unrolled: 1-line block ×5, first 2 shown]
	s_waitcnt vmcnt(0)
	v_cndmask_b32_e64 v13, v13, v37, s[12:13]
	v_cndmask_b32_e64 v15, v15, v37, s[10:11]
	buffer_load_dword v8, v16, s[0:3], 0 offen
	buffer_load_dword v9, v16, s[0:3], 0 offen offset:4
	buffer_load_dword v10, v17, s[0:3], 0 offen
	buffer_load_dword v11, v17, s[0:3], 0 offen offset:4
	v_cndmask_b32_e64 v16, v18, v0, s[22:23]
	v_cndmask_b32_e64 v17, v19, v0, s[16:17]
	;; [unrolled: 1-line block ×18, first 2 shown]
	v_add_f64 v[18:19], -v[6:7], 0
	v_div_scale_f64 v[6:7], s[44:45], v[4:5], v[4:5], v[18:19]
	v_cndmask_b32_e64 v14, v40, v38, s[6:7]
	v_rcp_f64_e32 v[20:21], v[6:7]
	v_cndmask_b32_e64 v12, v32, v30, s[8:9]
	v_cndmask_b32_e64 v14, v14, v36, s[12:13]
	v_cndmask_b32_e64 v12, v12, v28, s[10:11]
	v_cndmask_b32_e64 v14, v14, v0, s[16:17]
	v_cndmask_b32_e64 v12, v12, v0, s[14:15]
	v_cndmask_b32_e64 v14, v14, v0, s[22:23]
	v_cndmask_b32_e64 v12, v12, v0, s[18:19]
	v_cndmask_b32_e64 v16, v16, v0, s[26:27]
	v_cndmask_b32_e64 v14, v14, v0, s[26:27]
	v_fma_f64 v[24:25], -v[6:7], v[20:21], 1.0
	v_cndmask_b32_e64 v12, v12, v0, s[20:21]
	v_cndmask_b32_e64 v16, v16, v0, s[30:31]
	;; [unrolled: 1-line block ×3, first 2 shown]
	v_fmac_f64_e32 v[20:21], v[20:21], v[24:25]
	v_cndmask_b32_e64 v12, v12, v0, s[24:25]
	v_cndmask_b32_e64 v16, v16, v0, s[36:37]
	;; [unrolled: 1-line block ×3, first 2 shown]
	v_fma_f64 v[24:25], -v[6:7], v[20:21], 1.0
	v_cndmask_b32_e64 v3, v12, v0, s[28:29]
	v_cndmask_b32_e64 v12, v16, v0, s[38:39]
	;; [unrolled: 1-line block ×3, first 2 shown]
	v_div_scale_f64 v[22:23], vcc, v[18:19], v[4:5], v[18:19]
	v_fmac_f64_e32 v[20:21], v[20:21], v[24:25]
	v_mul_f64 v[24:25], v[22:23], v[20:21]
	v_fma_f64 v[6:7], -v[6:7], v[24:25], v[22:23]
	v_cndmask_b32_e64 v14, v3, v0, s[34:35]
	v_div_fmas_f64 v[6:7], v[6:7], v[20:21], v[24:25]
	v_cndmask_b32_e64 v3, v26, v0, s[18:19]
	v_div_fixup_f64 v[4:5], v[6:7], v[4:5], v[18:19]
	v_cndmask_b32_e64 v3, v3, v0, s[20:21]
	v_add_f64 v[6:7], -v[4:5], 1.0
	v_cndmask_b32_e64 v3, v3, v0, s[24:25]
	v_mul_f64 v[18:19], v[14:15], v[6:7]
	v_cndmask_b32_e64 v3, v3, v0, s[28:29]
	v_fmac_f64_e32 v[18:19], v[12:13], v[4:5]
	v_cndmask_b32_e64 v13, v3, v0, s[34:35]
	v_cndmask_b32_e64 v3, v40, v38, s[8:9]
	;; [unrolled: 1-line block ×16, first 2 shown]
	v_mul_f64 v[20:21], v[12:13], v[6:7]
	v_cndmask_b32_e64 v13, v3, v0, s[38:39]
	v_cndmask_b32_e64 v3, v152, v136, s[6:7]
	;; [unrolled: 1-line block ×32, first 2 shown]
	v_fmac_f64_e32 v[20:21], v[16:17], v[4:5]
	v_mul_f64 v[16:17], v[14:15], v[6:7]
	v_cndmask_b32_e64 v3, v3, v0, s[36:37]
	v_fmac_f64_e32 v[16:17], v[12:13], v[4:5]
	v_cndmask_b32_e64 v13, v3, v0, s[38:39]
	v_cndmask_b32_e64 v3, v162, v160, s[6:7]
	;; [unrolled: 1-line block ×25, first 2 shown]
	v_mul_f64 v[100:101], v[14:15], v[6:7]
	v_fmac_f64_e32 v[100:101], v[12:13], v[4:5]
	s_waitcnt vmcnt(2)
	v_add_f64 v[4:5], -v[8:9], 0
	s_waitcnt vmcnt(0)
	v_add_f64 v[6:7], v[10:11], -v[8:9]
	v_div_scale_f64 v[8:9], s[6:7], v[6:7], v[6:7], v[4:5]
	v_rcp_f64_e32 v[10:11], v[8:9]
	v_cmp_eq_u32_e64 s[6:7], 2, v166
	v_cmp_eq_u32_e64 s[8:9], 3, v166
	;; [unrolled: 1-line block ×3, first 2 shown]
	v_fma_f64 v[12:13], -v[8:9], v[10:11], 1.0
	v_fmac_f64_e32 v[10:11], v[10:11], v[12:13]
	v_fma_f64 v[12:13], -v[8:9], v[10:11], 1.0
	v_fmac_f64_e32 v[10:11], v[10:11], v[12:13]
	v_div_scale_f64 v[12:13], vcc, v[4:5], v[6:7], v[4:5]
	v_mul_f64 v[14:15], v[12:13], v[10:11]
	v_fma_f64 v[8:9], -v[8:9], v[14:15], v[12:13]
	v_cmp_eq_u32_e64 s[12:13], 5, v166
	s_nop 0
	v_div_fmas_f64 v[8:9], v[8:9], v[10:11], v[14:15]
	v_cmp_eq_u32_e32 vcc, 1, v166
	v_cndmask_b32_e32 v3, v33, v31, vcc
	v_cndmask_b32_e64 v3, v3, v29, s[6:7]
	v_cndmask_b32_e64 v3, v3, v19, s[8:9]
	;; [unrolled: 1-line block ×4, first 2 shown]
	v_cmp_eq_u32_e64 s[14:15], 6, v166
	v_cndmask_b32_e64 v3, v3, v0, s[14:15]
	v_cmp_eq_u32_e64 s[16:17], 7, v166
	v_cndmask_b32_e64 v3, v3, v0, s[16:17]
	v_cmp_eq_u32_e64 s[18:19], 8, v166
	v_div_fixup_f64 v[4:5], v[8:9], v[6:7], v[4:5]
	v_cndmask_b32_e64 v7, v3, v0, s[18:19]
	v_cndmask_b32_e32 v3, v32, v30, vcc
	v_cndmask_b32_e64 v3, v3, v28, s[6:7]
	v_cndmask_b32_e64 v3, v3, v18, s[8:9]
	;; [unrolled: 1-line block ×6, first 2 shown]
	v_cmp_eq_u32_e64 s[20:21], 1, v2
	v_cndmask_b32_e64 v6, v3, v0, s[18:19]
	v_cndmask_b32_e64 v3, v33, v31, s[20:21]
	v_cmp_eq_u32_e64 s[22:23], 2, v2
	v_cndmask_b32_e64 v3, v3, v29, s[22:23]
	v_cmp_eq_u32_e64 s[24:25], 3, v2
	;; [unrolled: 2-line block ×7, first 2 shown]
	v_cndmask_b32_e64 v2, v32, v30, s[20:21]
	v_cndmask_b32_e64 v3, v3, v0, s[36:37]
	;; [unrolled: 1-line block ×3, first 2 shown]
	v_pk_mov_b32 v[8:9], v[18:19], v[18:19] op_sel:[0,1]
	buffer_store_dword v2, off, s[0:3], 0 offset:116 ; 4-byte Folded Spill
	s_nop 0
	buffer_store_dword v3, off, s[0:3], 0 offset:120 ; 4-byte Folded Spill
	buffer_store_dword v4, off, s[0:3], 0 offset:124 ; 4-byte Folded Spill
	;; [unrolled: 1-line block ×31, first 2 shown]
	v_cndmask_b32_e64 v2, v2, v18, s[24:25]
	v_cndmask_b32_e64 v2, v2, v0, s[26:27]
	;; [unrolled: 1-line block ×6, first 2 shown]
	v_add_f64 v[8:9], -v[4:5], 1.0
	v_mul_f64 v[14:15], v[8:9], v[2:3]
	v_cndmask_b32_e32 v2, v41, v39, vcc
	v_cndmask_b32_e32 v3, v40, v38, vcc
	v_cndmask_b32_e64 v2, v2, v37, s[6:7]
	v_cndmask_b32_e64 v3, v3, v36, s[6:7]
	;; [unrolled: 1-line block ×10, first 2 shown]
	v_fmac_f64_e32 v[14:15], v[4:5], v[6:7]
	v_cndmask_b32_e64 v2, v2, v0, s[16:17]
	v_cndmask_b32_e64 v6, v3, v0, s[16:17]
	v_cndmask_b32_e64 v3, v2, v0, s[18:19]
	v_cndmask_b32_e64 v2, v6, v0, s[18:19]
	v_cndmask_b32_e64 v6, v41, v39, s[20:21]
	v_cndmask_b32_e64 v6, v6, v37, s[22:23]
	v_cndmask_b32_e64 v6, v6, v21, s[24:25]
	v_cndmask_b32_e64 v6, v6, v0, s[26:27]
	v_cndmask_b32_e64 v6, v6, v0, s[28:29]
	v_cndmask_b32_e64 v6, v6, v0, s[30:31]
	v_cndmask_b32_e64 v7, v40, v38, s[20:21]
	v_cndmask_b32_e64 v6, v6, v0, s[34:35]
	v_cndmask_b32_e64 v7, v7, v36, s[22:23]
	v_pk_mov_b32 v[10:11], v[20:21], v[20:21] op_sel:[0,1]
	buffer_store_dword v4, off, s[0:3], 0 offset:3444 ; 4-byte Folded Spill
	s_nop 0
	buffer_store_dword v5, off, s[0:3], 0 offset:3448 ; 4-byte Folded Spill
	buffer_store_dword v6, off, s[0:3], 0 offset:3452 ; 4-byte Folded Spill
	;; [unrolled: 1-line block ×31, first 2 shown]
	v_cndmask_b32_e64 v7, v7, v20, s[24:25]
	v_cndmask_b32_e64 v7, v7, v0, s[26:27]
	;; [unrolled: 1-line block ×7, first 2 shown]
	v_mul_f64 v[10:11], v[8:9], v[6:7]
	v_fmac_f64_e32 v[10:11], v[4:5], v[2:3]
	buffer_store_dword v2, off, s[0:3], 0 offset:244 ; 4-byte Folded Spill
	s_nop 0
	buffer_store_dword v3, off, s[0:3], 0 offset:248 ; 4-byte Folded Spill
	buffer_store_dword v4, off, s[0:3], 0 offset:252 ; 4-byte Folded Spill
	;; [unrolled: 1-line block ×31, first 2 shown]
	v_cndmask_b32_e32 v2, v153, v137, vcc
	v_cndmask_b32_e32 v3, v152, v136, vcc
	v_cndmask_b32_e64 v2, v2, v159, s[6:7]
	v_cndmask_b32_e64 v3, v3, v158, s[6:7]
	;; [unrolled: 1-line block ×23, first 2 shown]
	v_pk_mov_b32 v[10:11], v[16:17], v[16:17] op_sel:[0,1]
	buffer_store_dword v4, off, s[0:3], s33 ; 4-byte Folded Spill
	s_nop 0
	buffer_store_dword v5, off, s[0:3], s33 offset:4 ; 4-byte Folded Spill
	buffer_store_dword v6, off, s[0:3], s33 offset:8 ; 4-byte Folded Spill
	;; [unrolled: 1-line block ×31, first 2 shown]
	v_cndmask_b32_e64 v7, v7, v16, s[24:25]
                                        ; implicit-def: $vgpr16_vgpr17_vgpr18_vgpr19_vgpr20_vgpr21_vgpr22_vgpr23_vgpr24_vgpr25_vgpr26_vgpr27_vgpr28_vgpr29_vgpr30_vgpr31_vgpr32_vgpr33_vgpr34_vgpr35_vgpr36_vgpr37_vgpr38_vgpr39_vgpr40_vgpr41_vgpr42_vgpr43_vgpr44_vgpr45_vgpr46_vgpr47
                                        ; kill: killed $vgpr16_vgpr17_vgpr18_vgpr19_vgpr20_vgpr21_vgpr22_vgpr23_vgpr24_vgpr25_vgpr26_vgpr27_vgpr28_vgpr29_vgpr30_vgpr31_vgpr32_vgpr33_vgpr34_vgpr35_vgpr36_vgpr37_vgpr38_vgpr39_vgpr40_vgpr41_vgpr42_vgpr43_vgpr44_vgpr45_vgpr46_vgpr47
                                        ; implicit-def: $vgpr16_vgpr17_vgpr18_vgpr19_vgpr20_vgpr21_vgpr22_vgpr23_vgpr24_vgpr25_vgpr26_vgpr27_vgpr28_vgpr29_vgpr30_vgpr31_vgpr32_vgpr33_vgpr34_vgpr35_vgpr36_vgpr37_vgpr38_vgpr39_vgpr40_vgpr41_vgpr42_vgpr43_vgpr44_vgpr45_vgpr46_vgpr47
                                        ; kill: killed $vgpr16_vgpr17_vgpr18_vgpr19_vgpr20_vgpr21_vgpr22_vgpr23_vgpr24_vgpr25_vgpr26_vgpr27_vgpr28_vgpr29_vgpr30_vgpr31_vgpr32_vgpr33_vgpr34_vgpr35_vgpr36_vgpr37_vgpr38_vgpr39_vgpr40_vgpr41_vgpr42_vgpr43_vgpr44_vgpr45_vgpr46_vgpr47
	;; [unrolled: 2-line block ×8, first 2 shown]
                                        ; implicit-def: $vgpr16_vgpr17_vgpr18_vgpr19_vgpr20_vgpr21_vgpr22_vgpr23_vgpr24_vgpr25_vgpr26_vgpr27_vgpr28_vgpr29_vgpr30_vgpr31_vgpr32_vgpr33_vgpr34_vgpr35_vgpr36_vgpr37_vgpr38_vgpr39_vgpr40_vgpr41_vgpr42_vgpr43_vgpr44_vgpr45_vgpr46_vgpr47
	v_cndmask_b32_e64 v7, v7, v0, s[26:27]
                                        ; kill: killed $vgpr16_vgpr17_vgpr18_vgpr19_vgpr20_vgpr21_vgpr22_vgpr23_vgpr24_vgpr25_vgpr26_vgpr27_vgpr28_vgpr29_vgpr30_vgpr31_vgpr32_vgpr33_vgpr34_vgpr35_vgpr36_vgpr37_vgpr38_vgpr39_vgpr40_vgpr41_vgpr42_vgpr43_vgpr44_vgpr45_vgpr46_vgpr47
                                        ; implicit-def: $vgpr16_vgpr17_vgpr18_vgpr19_vgpr20_vgpr21_vgpr22_vgpr23_vgpr24_vgpr25_vgpr26_vgpr27_vgpr28_vgpr29_vgpr30_vgpr31_vgpr32_vgpr33_vgpr34_vgpr35_vgpr36_vgpr37_vgpr38_vgpr39_vgpr40_vgpr41_vgpr42_vgpr43_vgpr44_vgpr45_vgpr46_vgpr47
	v_cndmask_b32_e64 v7, v7, v0, s[28:29]
                                        ; kill: killed $vgpr16_vgpr17_vgpr18_vgpr19_vgpr20_vgpr21_vgpr22_vgpr23_vgpr24_vgpr25_vgpr26_vgpr27_vgpr28_vgpr29_vgpr30_vgpr31_vgpr32_vgpr33_vgpr34_vgpr35_vgpr36_vgpr37_vgpr38_vgpr39_vgpr40_vgpr41_vgpr42_vgpr43_vgpr44_vgpr45_vgpr46_vgpr47
	;; [unrolled: 3-line block ×4, first 2 shown]
                                        ; implicit-def: $vgpr16_vgpr17_vgpr18_vgpr19_vgpr20_vgpr21_vgpr22_vgpr23_vgpr24_vgpr25_vgpr26_vgpr27_vgpr28_vgpr29_vgpr30_vgpr31_vgpr32_vgpr33_vgpr34_vgpr35_vgpr36_vgpr37_vgpr38_vgpr39_vgpr40_vgpr41_vgpr42_vgpr43_vgpr44_vgpr45_vgpr46_vgpr47
	v_cndmask_b32_e64 v7, v6, v0, s[36:37]
	v_cndmask_b32_e64 v6, v10, v0, s[36:37]
                                        ; kill: killed $vgpr16_vgpr17_vgpr18_vgpr19_vgpr20_vgpr21_vgpr22_vgpr23_vgpr24_vgpr25_vgpr26_vgpr27_vgpr28_vgpr29_vgpr30_vgpr31_vgpr32_vgpr33_vgpr34_vgpr35_vgpr36_vgpr37_vgpr38_vgpr39_vgpr40_vgpr41_vgpr42_vgpr43_vgpr44_vgpr45_vgpr46_vgpr47
                                        ; implicit-def: $vgpr16_vgpr17_vgpr18_vgpr19_vgpr20_vgpr21_vgpr22_vgpr23_vgpr24_vgpr25_vgpr26_vgpr27_vgpr28_vgpr29_vgpr30_vgpr31_vgpr32_vgpr33_vgpr34_vgpr35_vgpr36_vgpr37_vgpr38_vgpr39_vgpr40_vgpr41_vgpr42_vgpr43_vgpr44_vgpr45_vgpr46_vgpr47
	v_mul_f64 v[76:77], v[8:9], v[6:7]
                                        ; kill: killed $vgpr16_vgpr17_vgpr18_vgpr19_vgpr20_vgpr21_vgpr22_vgpr23_vgpr24_vgpr25_vgpr26_vgpr27_vgpr28_vgpr29_vgpr30_vgpr31_vgpr32_vgpr33_vgpr34_vgpr35_vgpr36_vgpr37_vgpr38_vgpr39_vgpr40_vgpr41_vgpr42_vgpr43_vgpr44_vgpr45_vgpr46_vgpr47
                                        ; implicit-def: $vgpr16_vgpr17_vgpr18_vgpr19_vgpr20_vgpr21_vgpr22_vgpr23_vgpr24_vgpr25_vgpr26_vgpr27_vgpr28_vgpr29_vgpr30_vgpr31_vgpr32_vgpr33_vgpr34_vgpr35_vgpr36_vgpr37_vgpr38_vgpr39_vgpr40_vgpr41_vgpr42_vgpr43_vgpr44_vgpr45_vgpr46_vgpr47
	v_fmac_f64_e32 v[76:77], v[4:5], v[2:3]
	v_cndmask_b32_e32 v2, v163, v161, vcc
	v_cndmask_b32_e32 v3, v162, v160, vcc
                                        ; kill: killed $vgpr16_vgpr17_vgpr18_vgpr19_vgpr20_vgpr21_vgpr22_vgpr23_vgpr24_vgpr25_vgpr26_vgpr27_vgpr28_vgpr29_vgpr30_vgpr31_vgpr32_vgpr33_vgpr34_vgpr35_vgpr36_vgpr37_vgpr38_vgpr39_vgpr40_vgpr41_vgpr42_vgpr43_vgpr44_vgpr45_vgpr46_vgpr47
                                        ; implicit-def: $vgpr16_vgpr17_vgpr18_vgpr19_vgpr20_vgpr21_vgpr22_vgpr23_vgpr24_vgpr25_vgpr26_vgpr27_vgpr28_vgpr29_vgpr30_vgpr31_vgpr32_vgpr33_vgpr34_vgpr35_vgpr36_vgpr37_vgpr38_vgpr39_vgpr40_vgpr41_vgpr42_vgpr43_vgpr44_vgpr45_vgpr46_vgpr47
	v_cndmask_b32_e64 v2, v2, v165, s[6:7]
	v_cndmask_b32_e64 v3, v3, v164, s[6:7]
                                        ; kill: killed $vgpr16_vgpr17_vgpr18_vgpr19_vgpr20_vgpr21_vgpr22_vgpr23_vgpr24_vgpr25_vgpr26_vgpr27_vgpr28_vgpr29_vgpr30_vgpr31_vgpr32_vgpr33_vgpr34_vgpr35_vgpr36_vgpr37_vgpr38_vgpr39_vgpr40_vgpr41_vgpr42_vgpr43_vgpr44_vgpr45_vgpr46_vgpr47
                                        ; implicit-def: $vgpr16_vgpr17_vgpr18_vgpr19_vgpr20_vgpr21_vgpr22_vgpr23_vgpr24_vgpr25_vgpr26_vgpr27_vgpr28_vgpr29_vgpr30_vgpr31_vgpr32_vgpr33_vgpr34_vgpr35_vgpr36_vgpr37_vgpr38_vgpr39_vgpr40_vgpr41_vgpr42_vgpr43_vgpr44_vgpr45_vgpr46_vgpr47
	v_cndmask_b32_e64 v2, v2, v101, s[8:9]
	v_cndmask_b32_e64 v3, v3, v100, s[8:9]
	;; [unrolled: 4-line block ×7, first 2 shown]
	v_cndmask_b32_e64 v6, v163, v161, s[20:21]
	v_cndmask_b32_e64 v7, v162, v160, s[20:21]
                                        ; kill: killed $vgpr16_vgpr17_vgpr18_vgpr19_vgpr20_vgpr21_vgpr22_vgpr23_vgpr24_vgpr25_vgpr26_vgpr27_vgpr28_vgpr29_vgpr30_vgpr31_vgpr32_vgpr33_vgpr34_vgpr35_vgpr36_vgpr37_vgpr38_vgpr39_vgpr40_vgpr41_vgpr42_vgpr43_vgpr44_vgpr45_vgpr46_vgpr47
                                        ; implicit-def: $vgpr16_vgpr17_vgpr18_vgpr19_vgpr20_vgpr21_vgpr22_vgpr23_vgpr24_vgpr25_vgpr26_vgpr27_vgpr28_vgpr29_vgpr30_vgpr31_vgpr32_vgpr33_vgpr34_vgpr35_vgpr36_vgpr37_vgpr38_vgpr39_vgpr40_vgpr41_vgpr42_vgpr43_vgpr44_vgpr45_vgpr46_vgpr47
	v_cndmask_b32_e64 v6, v6, v165, s[22:23]
	v_cndmask_b32_e64 v7, v7, v164, s[22:23]
                                        ; kill: killed $vgpr16_vgpr17_vgpr18_vgpr19_vgpr20_vgpr21_vgpr22_vgpr23_vgpr24_vgpr25_vgpr26_vgpr27_vgpr28_vgpr29_vgpr30_vgpr31_vgpr32_vgpr33_vgpr34_vgpr35_vgpr36_vgpr37_vgpr38_vgpr39_vgpr40_vgpr41_vgpr42_vgpr43_vgpr44_vgpr45_vgpr46_vgpr47
                                        ; implicit-def: $vgpr16_vgpr17_vgpr18_vgpr19_vgpr20_vgpr21_vgpr22_vgpr23_vgpr24_vgpr25_vgpr26_vgpr27_vgpr28_vgpr29_vgpr30_vgpr31_vgpr32_vgpr33_vgpr34_vgpr35_vgpr36_vgpr37_vgpr38_vgpr39_vgpr40_vgpr41_vgpr42_vgpr43_vgpr44_vgpr45_vgpr46_vgpr47
	;; [unrolled: 4-line block ×8, first 2 shown]
	v_mul_f64 v[134:135], v[8:9], v[6:7]
                                        ; kill: killed $vgpr16_vgpr17_vgpr18_vgpr19_vgpr20_vgpr21_vgpr22_vgpr23_vgpr24_vgpr25_vgpr26_vgpr27_vgpr28_vgpr29_vgpr30_vgpr31_vgpr32_vgpr33_vgpr34_vgpr35_vgpr36_vgpr37_vgpr38_vgpr39_vgpr40_vgpr41_vgpr42_vgpr43_vgpr44_vgpr45_vgpr46_vgpr47
                                        ; implicit-def: $vgpr16_vgpr17_vgpr18_vgpr19_vgpr20_vgpr21_vgpr22_vgpr23_vgpr24_vgpr25_vgpr26_vgpr27_vgpr28_vgpr29_vgpr30_vgpr31_vgpr32_vgpr33_vgpr34_vgpr35_vgpr36_vgpr37_vgpr38_vgpr39_vgpr40_vgpr41_vgpr42_vgpr43_vgpr44_vgpr45_vgpr46_vgpr47
	v_fmac_f64_e32 v[134:135], v[4:5], v[2:3]
	v_mov_b32_e32 v2, 5
	v_mov_b32_e32 v4, 3
	;; [unrolled: 1-line block ×3, first 2 shown]
                                        ; kill: killed $vgpr16_vgpr17_vgpr18_vgpr19_vgpr20_vgpr21_vgpr22_vgpr23_vgpr24_vgpr25_vgpr26_vgpr27_vgpr28_vgpr29_vgpr30_vgpr31_vgpr32_vgpr33_vgpr34_vgpr35_vgpr36_vgpr37_vgpr38_vgpr39_vgpr40_vgpr41_vgpr42_vgpr43_vgpr44_vgpr45_vgpr46_vgpr47
	v_mov_b32_e32 v42, -1
	v_pk_mov_b32 v[40:41], v[0:1], v[0:1] op_sel:[0,1]
	buffer_store_dword v2, off, s[0:3], 0 offset:100
.LBB0_5:
	s_or_b64 exec, exec, s[42:43]
	buffer_store_dword v42, off, s[0:3], 0 offset:96
	s_mov_b32 s8, 0x48500
	buffer_load_dword v108, off, s[0:3], s8 ; 4-byte Folded Reload
	buffer_load_dword v109, off, s[0:3], s8 offset:4 ; 4-byte Folded Reload
	s_mov_b32 s8, 0x48700
	buffer_load_dword v102, off, s[0:3], s8 ; 4-byte Folded Reload
	buffer_load_dword v103, off, s[0:3], s8 offset:4 ; 4-byte Folded Reload
	;; [unrolled: 3-line block ×3, first 2 shown]
	s_mov_b64 s[6:7], 0
	v_mov_b32_e32 v2, 0
	s_branch .LBB0_7
.LBB0_6:                                ;   in Loop: Header=BB0_7 Depth=1
	s_or_b64 exec, exec, s[10:11]
	s_waitcnt vmcnt(0)
	v_cmp_gt_i32_e32 vcc, 0, v3
	s_or_b64 s[6:7], vcc, s[6:7]
	v_mov_b32_e32 v2, v3
	s_andn2_b64 exec, exec, s[6:7]
	s_cbranch_execz .LBB0_13
.LBB0_7:                                ; =>This Inner Loop Header: Depth=1
	v_lshlrev_b32_e32 v3, 2, v2
	v_add_u32_e32 v7, 16, v3
	v_add_u32_e32 v3, v7, v3
	buffer_load_dword v8, v3, s[0:3], 0 offen
	buffer_load_dword v9, v3, s[0:3], 0 offen offset:4
	s_nop 0
	buffer_load_dword v3, v7, s[0:3], 0 offen offset:40
	s_mov_b64 s[8:9], 0
                                        ; implicit-def: $vgpr6
	s_waitcnt vmcnt(1)
	v_cmp_ngt_f64_e32 vcc, 0, v[8:9]
	s_and_saveexec_b64 s[10:11], vcc
	s_xor_b64 s[10:11], exec, s[10:11]
	s_cbranch_execnz .LBB0_10
; %bb.8:                                ;   in Loop: Header=BB0_7 Depth=1
	s_andn2_saveexec_b64 s[10:11], s[10:11]
	s_cbranch_execnz .LBB0_11
.LBB0_9:                                ;   in Loop: Header=BB0_7 Depth=1
	s_or_b64 exec, exec, s[10:11]
	s_and_saveexec_b64 s[10:11], s[8:9]
	s_cbranch_execz .LBB0_6
	s_branch .LBB0_12
.LBB0_10:                               ;   in Loop: Header=BB0_7 Depth=1
	buffer_load_dword v6, off, s[0:3], 0 offset:96
                                        ; implicit-def: $vgpr7
	s_waitcnt vmcnt(0)
	v_cmp_eq_u32_e32 vcc, -1, v6
	v_mov_b32_e32 v6, 0x60
	s_and_b64 s[8:9], vcc, exec
	s_andn2_saveexec_b64 s[10:11], s[10:11]
	s_cbranch_execz .LBB0_9
.LBB0_11:                               ;   in Loop: Header=BB0_7 Depth=1
	buffer_load_dword v8, off, s[0:3], 0 offset:100
	v_mov_b32_e32 v6, 0x64
	s_or_b64 s[8:9], s[8:9], exec
	s_waitcnt vmcnt(0)
	buffer_store_dword v8, v7, s[0:3], 0 offen offset:40
	s_or_b64 exec, exec, s[10:11]
	s_and_saveexec_b64 s[10:11], s[8:9]
	s_cbranch_execz .LBB0_6
.LBB0_12:                               ;   in Loop: Header=BB0_7 Depth=1
	buffer_store_dword v2, v6, s[0:3], 0 offen
	s_branch .LBB0_6
.LBB0_13:
	s_or_b64 exec, exec, s[6:7]
	v_pk_mov_b32 v[116:117], v[14:15], v[14:15] op_sel:[0,1]
	s_and_saveexec_b64 s[6:7], s[4:5]
	s_cbranch_execz .LBB0_15
; %bb.14:
	v_mov_b32_e32 v2, 16
	v_cmp_gt_f64_e32 vcc, 0, v[40:41]
	v_lshl_add_u32 v3, v167, 2, v2
	s_or_b64 s[4:5], s[40:41], vcc
	v_lshl_add_u32 v6, v4, 2, v2
	v_cndmask_b32_e64 v7, v166, -1, s[4:5]
	v_lshl_add_u32 v2, v5, 2, v2
	buffer_store_dword v4, v3, s[0:3], 0 offen offset:40
	buffer_store_dword v5, v6, s[0:3], 0 offen offset:40
	;; [unrolled: 1-line block ×3, first 2 shown]
.LBB0_15:
	s_or_b64 exec, exec, s[6:7]
	buffer_load_dword v122, off, s[0:3], 0 offset:96
	buffer_load_dword v44, off, s[0:3], 0 offset:116 ; 4-byte Folded Reload
	buffer_load_dword v45, off, s[0:3], 0 offset:120 ; 4-byte Folded Reload
	;; [unrolled: 1-line block ×64, first 2 shown]
	v_pk_mov_b32 v[8:9], v[116:117], v[116:117] op_sel:[0,1]
	v_pk_mov_b32 v[142:143], -1, -1
	v_mov_b32_e32 v123, -1
	v_mov_b32_e32 v124, -1
	v_pk_mov_b32 v[138:139], 0, 0
	s_waitcnt vmcnt(62)
	v_cmp_eq_u32_e32 vcc, 1, v122
	v_cndmask_b32_e32 v2, v111, v103, vcc
	v_cmp_eq_u32_e64 s[4:5], 2, v122
	v_cndmask_b32_e64 v2, v2, v109, s[4:5]
	v_cmp_eq_u32_e64 s[6:7], 3, v122
	s_waitcnt vmcnt(56)
	v_pk_mov_b32 v[6:7], v[50:51], v[50:51] op_sel:[0,1]
	v_cndmask_b32_e32 v3, v110, v102, vcc
	v_cndmask_b32_e64 v2, v2, v7, s[6:7]
	v_cndmask_b32_e64 v3, v3, v108, s[4:5]
	v_cmp_eq_u32_e32 vcc, 4, v122
	v_cndmask_b32_e32 v2, v2, v9, vcc
	v_cndmask_b32_e64 v3, v3, v6, s[6:7]
	v_cmp_eq_u32_e64 s[4:5], 5, v122
	s_waitcnt vmcnt(20)
	v_cndmask_b32_e64 v2, v2, v21, s[4:5]
	v_cndmask_b32_e32 v3, v3, v8, vcc
	buffer_load_dword v4, off, s[0:3], 0 offset:2548 ; 4-byte Folded Reload
	buffer_load_dword v5, off, s[0:3], 0 offset:2552 ; 4-byte Folded Reload
	;; [unrolled: 1-line block ×32, first 2 shown]
	v_cmp_eq_u32_e32 vcc, 6, v122
	s_waitcnt vmcnt(18)
	v_cndmask_b32_e32 v2, v2, v17, vcc
	buffer_load_dword v4, off, s[0:3], 0 offset:3188 ; 4-byte Folded Reload
	buffer_load_dword v5, off, s[0:3], 0 offset:3192 ; 4-byte Folded Reload
	buffer_load_dword v6, off, s[0:3], 0 offset:3196 ; 4-byte Folded Reload
	buffer_load_dword v7, off, s[0:3], 0 offset:3200 ; 4-byte Folded Reload
	buffer_load_dword v8, off, s[0:3], 0 offset:3204 ; 4-byte Folded Reload
	buffer_load_dword v9, off, s[0:3], 0 offset:3208 ; 4-byte Folded Reload
	buffer_load_dword v10, off, s[0:3], 0 offset:3212 ; 4-byte Folded Reload
	buffer_load_dword v11, off, s[0:3], 0 offset:3216 ; 4-byte Folded Reload
	buffer_load_dword v12, off, s[0:3], 0 offset:3220 ; 4-byte Folded Reload
	buffer_load_dword v13, off, s[0:3], 0 offset:3224 ; 4-byte Folded Reload
	buffer_load_dword v14, off, s[0:3], 0 offset:3228 ; 4-byte Folded Reload
	buffer_load_dword v15, off, s[0:3], 0 offset:3232 ; 4-byte Folded Reload
	buffer_load_dword v16, off, s[0:3], 0 offset:3236 ; 4-byte Folded Reload
	buffer_load_dword v17, off, s[0:3], 0 offset:3240 ; 4-byte Folded Reload
	buffer_load_dword v18, off, s[0:3], 0 offset:3244 ; 4-byte Folded Reload
	buffer_load_dword v19, off, s[0:3], 0 offset:3248 ; 4-byte Folded Reload
	buffer_load_dword v20, off, s[0:3], 0 offset:3252 ; 4-byte Folded Reload
	buffer_load_dword v21, off, s[0:3], 0 offset:3256 ; 4-byte Folded Reload
	buffer_load_dword v22, off, s[0:3], 0 offset:3260 ; 4-byte Folded Reload
	buffer_load_dword v23, off, s[0:3], 0 offset:3264 ; 4-byte Folded Reload
	buffer_load_dword v24, off, s[0:3], 0 offset:3268 ; 4-byte Folded Reload
	buffer_load_dword v25, off, s[0:3], 0 offset:3272 ; 4-byte Folded Reload
	buffer_load_dword v26, off, s[0:3], 0 offset:3276 ; 4-byte Folded Reload
	buffer_load_dword v27, off, s[0:3], 0 offset:3280 ; 4-byte Folded Reload
	buffer_load_dword v28, off, s[0:3], 0 offset:3284 ; 4-byte Folded Reload
	buffer_load_dword v29, off, s[0:3], 0 offset:3288 ; 4-byte Folded Reload
	buffer_load_dword v30, off, s[0:3], 0 offset:3292 ; 4-byte Folded Reload
	buffer_load_dword v31, off, s[0:3], 0 offset:3296 ; 4-byte Folded Reload
	buffer_load_dword v32, off, s[0:3], 0 offset:3300 ; 4-byte Folded Reload
	buffer_load_dword v33, off, s[0:3], 0 offset:3304 ; 4-byte Folded Reload
	buffer_load_dword v34, off, s[0:3], 0 offset:3308 ; 4-byte Folded Reload
	buffer_load_dword v35, off, s[0:3], 0 offset:3312 ; 4-byte Folded Reload
	s_waitcnt vmcnt(21)
	v_cndmask_b32_e64 v3, v3, v14, s[4:5]
	buffer_load_dword v4, off, s[0:3], 0 offset:2420 ; 4-byte Folded Reload
	buffer_load_dword v5, off, s[0:3], 0 offset:2424 ; 4-byte Folded Reload
	;; [unrolled: 1-line block ×32, first 2 shown]
	v_cmp_eq_u32_e64 s[4:5], 7, v122
	s_waitcnt vmcnt(16)
	v_cndmask_b32_e64 v2, v2, v19, s[4:5]
	buffer_load_dword v4, off, s[0:3], 0 offset:3060 ; 4-byte Folded Reload
	buffer_load_dword v5, off, s[0:3], 0 offset:3064 ; 4-byte Folded Reload
	;; [unrolled: 1-line block ×32, first 2 shown]
	s_waitcnt vmcnt(19)
	v_cndmask_b32_e32 v3, v3, v16, vcc
	buffer_load_dword v4, off, s[0:3], 0 offset:2932 ; 4-byte Folded Reload
	buffer_load_dword v5, off, s[0:3], 0 offset:2936 ; 4-byte Folded Reload
	;; [unrolled: 1-line block ×32, first 2 shown]
	v_cmp_eq_u32_e32 vcc, 8, v122
	s_waitcnt vmcnt(17)
	v_cndmask_b32_e64 v3, v3, v18, s[4:5]
	buffer_load_dword v4, off, s[0:3], 0 offset:2292 ; 4-byte Folded Reload
	buffer_load_dword v5, off, s[0:3], 0 offset:2296 ; 4-byte Folded Reload
	;; [unrolled: 1-line block ×32, first 2 shown]
	v_cmp_lt_i32_e64 s[4:5], -1, v122
	s_waitcnt vmcnt(14)
	v_cndmask_b32_e32 v141, v2, v21, vcc
	buffer_load_dword v4, off, s[0:3], 0 offset:2804 ; 4-byte Folded Reload
	buffer_load_dword v5, off, s[0:3], 0 offset:2808 ; 4-byte Folded Reload
	;; [unrolled: 1-line block ×32, first 2 shown]
	s_waitcnt vmcnt(26)
	v_pk_mov_b32 v[8:9], v[142:143], v[142:143] op_sel:[0,1]
	s_waitcnt vmcnt(15)
	v_cndmask_b32_e32 v140, v3, v20, vcc
	s_and_saveexec_b64 s[14:15], s[4:5]
	s_cbranch_execz .LBB0_19
; %bb.16:
	buffer_load_dword v16, off, s[0:3], 0 offset:112 ; 4-byte Folded Reload
	buffer_load_dword v44, off, s[0:3], 0 offset:116 ; 4-byte Folded Reload
	;; [unrolled: 1-line block ×33, first 2 shown]
	s_mov_b64 s[16:17], 0
	v_mov_b32_e32 v123, -1
	v_mov_b32_e32 v7, v122
	v_mov_b32_e32 v142, -1
	v_mov_b32_e32 v8, -1
	;; [unrolled: 1-line block ×3, first 2 shown]
	v_pk_mov_b32 v[10:11], v[140:141], v[140:141] op_sel:[0,1]
	s_waitcnt vmcnt(45)
	v_pk_mov_b32 v[22:23], v[116:117], v[116:117] op_sel:[0,1]
	s_waitcnt vmcnt(24)
	v_pk_mov_b32 v[20:21], v[50:51], v[50:51] op_sel:[0,1]
	buffer_load_dword v24, off, s[0:3], 0 offset:2292 ; 4-byte Folded Reload
	buffer_load_dword v25, off, s[0:3], 0 offset:2296 ; 4-byte Folded Reload
	buffer_load_dword v26, off, s[0:3], 0 offset:2300 ; 4-byte Folded Reload
	buffer_load_dword v27, off, s[0:3], 0 offset:2304 ; 4-byte Folded Reload
	buffer_load_dword v28, off, s[0:3], 0 offset:2308 ; 4-byte Folded Reload
	buffer_load_dword v29, off, s[0:3], 0 offset:2312 ; 4-byte Folded Reload
	buffer_load_dword v30, off, s[0:3], 0 offset:2316 ; 4-byte Folded Reload
	buffer_load_dword v31, off, s[0:3], 0 offset:2320 ; 4-byte Folded Reload
	buffer_load_dword v32, off, s[0:3], 0 offset:2324 ; 4-byte Folded Reload
	buffer_load_dword v33, off, s[0:3], 0 offset:2328 ; 4-byte Folded Reload
	buffer_load_dword v34, off, s[0:3], 0 offset:2332 ; 4-byte Folded Reload
	buffer_load_dword v35, off, s[0:3], 0 offset:2336 ; 4-byte Folded Reload
	buffer_load_dword v36, off, s[0:3], 0 offset:2340 ; 4-byte Folded Reload
	buffer_load_dword v37, off, s[0:3], 0 offset:2344 ; 4-byte Folded Reload
	buffer_load_dword v38, off, s[0:3], 0 offset:2348 ; 4-byte Folded Reload
	buffer_load_dword v39, off, s[0:3], 0 offset:2352 ; 4-byte Folded Reload
	buffer_load_dword v40, off, s[0:3], 0 offset:2356 ; 4-byte Folded Reload
	buffer_load_dword v41, off, s[0:3], 0 offset:2360 ; 4-byte Folded Reload
	buffer_load_dword v42, off, s[0:3], 0 offset:2364 ; 4-byte Folded Reload
	buffer_load_dword v43, off, s[0:3], 0 offset:2368 ; 4-byte Folded Reload
	buffer_load_dword v44, off, s[0:3], 0 offset:2372 ; 4-byte Folded Reload
	buffer_load_dword v45, off, s[0:3], 0 offset:2376 ; 4-byte Folded Reload
	buffer_load_dword v46, off, s[0:3], 0 offset:2380 ; 4-byte Folded Reload
	buffer_load_dword v47, off, s[0:3], 0 offset:2384 ; 4-byte Folded Reload
	buffer_load_dword v48, off, s[0:3], 0 offset:2388 ; 4-byte Folded Reload
	buffer_load_dword v49, off, s[0:3], 0 offset:2392 ; 4-byte Folded Reload
	buffer_load_dword v50, off, s[0:3], 0 offset:2396 ; 4-byte Folded Reload
	buffer_load_dword v51, off, s[0:3], 0 offset:2400 ; 4-byte Folded Reload
	buffer_load_dword v52, off, s[0:3], 0 offset:2404 ; 4-byte Folded Reload
	buffer_load_dword v53, off, s[0:3], 0 offset:2408 ; 4-byte Folded Reload
	buffer_load_dword v54, off, s[0:3], 0 offset:2412 ; 4-byte Folded Reload
	buffer_load_dword v55, off, s[0:3], 0 offset:2416 ; 4-byte Folded Reload
	s_waitcnt vmcnt(14)
	v_mov_b32_e32 v17, v41
	buffer_load_dword v24, off, s[0:3], 0 offset:2420 ; 4-byte Folded Reload
	buffer_load_dword v25, off, s[0:3], 0 offset:2424 ; 4-byte Folded Reload
	buffer_load_dword v26, off, s[0:3], 0 offset:2428 ; 4-byte Folded Reload
	buffer_load_dword v27, off, s[0:3], 0 offset:2432 ; 4-byte Folded Reload
	buffer_load_dword v28, off, s[0:3], 0 offset:2436 ; 4-byte Folded Reload
	buffer_load_dword v29, off, s[0:3], 0 offset:2440 ; 4-byte Folded Reload
	buffer_load_dword v30, off, s[0:3], 0 offset:2444 ; 4-byte Folded Reload
	buffer_load_dword v31, off, s[0:3], 0 offset:2448 ; 4-byte Folded Reload
	buffer_load_dword v32, off, s[0:3], 0 offset:2452 ; 4-byte Folded Reload
	buffer_load_dword v33, off, s[0:3], 0 offset:2456 ; 4-byte Folded Reload
	buffer_load_dword v34, off, s[0:3], 0 offset:2460 ; 4-byte Folded Reload
	buffer_load_dword v35, off, s[0:3], 0 offset:2464 ; 4-byte Folded Reload
	buffer_load_dword v36, off, s[0:3], 0 offset:2468 ; 4-byte Folded Reload
	buffer_load_dword v37, off, s[0:3], 0 offset:2472 ; 4-byte Folded Reload
	buffer_load_dword v38, off, s[0:3], 0 offset:2476 ; 4-byte Folded Reload
	buffer_load_dword v39, off, s[0:3], 0 offset:2480 ; 4-byte Folded Reload
	buffer_load_dword v40, off, s[0:3], 0 offset:2484 ; 4-byte Folded Reload
	buffer_load_dword v41, off, s[0:3], 0 offset:2488 ; 4-byte Folded Reload
	buffer_load_dword v42, off, s[0:3], 0 offset:2492 ; 4-byte Folded Reload
	buffer_load_dword v43, off, s[0:3], 0 offset:2496 ; 4-byte Folded Reload
	buffer_load_dword v44, off, s[0:3], 0 offset:2500 ; 4-byte Folded Reload
	buffer_load_dword v45, off, s[0:3], 0 offset:2504 ; 4-byte Folded Reload
	buffer_load_dword v46, off, s[0:3], 0 offset:2508 ; 4-byte Folded Reload
	buffer_load_dword v47, off, s[0:3], 0 offset:2512 ; 4-byte Folded Reload
	buffer_load_dword v48, off, s[0:3], 0 offset:2516 ; 4-byte Folded Reload
	buffer_load_dword v49, off, s[0:3], 0 offset:2520 ; 4-byte Folded Reload
	buffer_load_dword v50, off, s[0:3], 0 offset:2524 ; 4-byte Folded Reload
	buffer_load_dword v51, off, s[0:3], 0 offset:2528 ; 4-byte Folded Reload
	buffer_load_dword v52, off, s[0:3], 0 offset:2532 ; 4-byte Folded Reload
	buffer_load_dword v53, off, s[0:3], 0 offset:2536 ; 4-byte Folded Reload
	buffer_load_dword v54, off, s[0:3], 0 offset:2540 ; 4-byte Folded Reload
	buffer_load_dword v55, off, s[0:3], 0 offset:2544 ; 4-byte Folded Reload
	s_waitcnt vmcnt(16)
	v_mov_b32_e32 v19, v39
	;; [unrolled: 34-line block ×8, first 2 shown]
.LBB0_17:                               ; =>This Inner Loop Header: Depth=1
	v_lshl_add_u32 v2, v7, 2, v16
	buffer_load_dword v9, v2, s[0:3], 0 offen
	v_pk_mov_b32 v[138:139], v[10:11], v[10:11] op_sel:[0,1]
	s_waitcnt vmcnt(0)
	v_cmp_gt_i32_e32 vcc, 0, v9
	v_cndmask_b32_e32 v12, v9, v122, vcc
	v_cmp_eq_u32_e64 s[6:7], 1, v12
	v_cndmask_b32_e64 v2, v111, v103, s[6:7]
	v_cmp_eq_u32_e64 s[8:9], 2, v12
	v_cndmask_b32_e64 v3, v110, v102, s[6:7]
	v_cndmask_b32_e64 v2, v2, v109, s[8:9]
	v_cmp_eq_u32_e64 s[10:11], 3, v12
	v_cndmask_b32_e64 v3, v3, v108, s[8:9]
	;; [unrolled: 3-line block ×6, first 2 shown]
	v_cndmask_b32_e64 v2, v2, v19, s[8:9]
	v_cndmask_b32_e64 v3, v3, v24, s[8:9]
	v_cmp_eq_u32_e64 s[6:7], 8, v12
	v_cndmask_b32_e64 v15, v2, v17, s[6:7]
	v_cndmask_b32_e64 v14, v3, v18, s[6:7]
	v_cmp_le_f64_e64 s[6:7], 0, v[138:139]
	v_cmp_gt_f64_e64 s[8:9], 0, v[138:139]
	v_cmp_gt_f64_e64 s[10:11], 0, v[14:15]
	v_cmp_le_f64_e64 s[12:13], 0, v[14:15]
	s_and_b64 s[6:7], s[6:7], s[10:11]
	s_and_b64 s[8:9], s[8:9], s[12:13]
	v_cndmask_b32_e64 v8, v8, v12, s[6:7]
	v_cndmask_b32_e64 v124, v124, v12, s[8:9]
	;; [unrolled: 1-line block ×4, first 2 shown]
	s_or_b64 s[16:17], vcc, s[16:17]
	v_mov_b32_e32 v7, v9
	v_pk_mov_b32 v[10:11], v[14:15], v[14:15] op_sel:[0,1]
	s_andn2_b64 exec, exec, s[16:17]
	s_cbranch_execnz .LBB0_17
; %bb.18:
	s_or_b64 exec, exec, s[16:17]
.LBB0_19:
	s_or_b64 exec, exec, s[14:15]
	v_cmp_lt_i32_e64 s[6:7], -1, v123
	v_mov_b32_e32 v0, -1
	v_mov_b32_e32 v125, -1
	;; [unrolled: 1-line block ×3, first 2 shown]
	s_and_saveexec_b64 s[58:59], s[6:7]
	s_cbranch_execz .LBB0_21
; %bb.20:
	buffer_load_dword v44, off, s[0:3], 0 offset:116 ; 4-byte Folded Reload
	buffer_load_dword v45, off, s[0:3], 0 offset:120 ; 4-byte Folded Reload
	;; [unrolled: 1-line block ×32, first 2 shown]
	v_cmp_eq_u32_e64 s[8:9], 1, v8
	v_cndmask_b32_e64 v7, v111, v103, s[8:9]
	v_cmp_eq_u32_e64 s[10:11], 2, v8
	v_cndmask_b32_e64 v7, v7, v109, s[10:11]
	v_cmp_eq_u32_e64 s[12:13], 3, v8
	v_cmp_eq_u32_e64 s[14:15], 4, v8
	;; [unrolled: 1-line block ×7, first 2 shown]
	v_cndmask_b32_e64 v8, v110, v102, s[8:9]
	v_cmp_eq_u32_e64 s[26:27], 2, v123
	v_cndmask_b32_e64 v10, v110, v102, s[24:25]
	v_cndmask_b32_e64 v8, v8, v108, s[10:11]
	v_cmp_eq_u32_e64 s[28:29], 3, v123
	v_cndmask_b32_e64 v10, v10, v108, s[26:27]
	v_cmp_eq_u32_e64 s[30:31], 4, v123
	v_cmp_eq_u32_e64 s[34:35], 5, v123
	;; [unrolled: 1-line block ×5, first 2 shown]
	s_mov_b32 s33, 0x48100
	s_waitcnt vmcnt(24)
	v_pk_mov_b32 v[30:31], v[50:51], v[50:51] op_sel:[0,1]
	buffer_load_dword v32, off, s[0:3], 0 offset:2676 ; 4-byte Folded Reload
	buffer_load_dword v33, off, s[0:3], 0 offset:2680 ; 4-byte Folded Reload
	;; [unrolled: 1-line block ×32, first 2 shown]
	v_cndmask_b32_e64 v7, v7, v31, s[12:13]
	v_cndmask_b32_e64 v7, v7, v117, s[14:15]
	;; [unrolled: 1-line block ×6, first 2 shown]
	s_waitcnt vmcnt(20)
	v_mov_b32_e32 v65, v43
	buffer_load_dword v32, off, s[0:3], 0 offset:2548 ; 4-byte Folded Reload
	buffer_load_dword v33, off, s[0:3], 0 offset:2552 ; 4-byte Folded Reload
	buffer_load_dword v34, off, s[0:3], 0 offset:2556 ; 4-byte Folded Reload
	buffer_load_dword v35, off, s[0:3], 0 offset:2560 ; 4-byte Folded Reload
	buffer_load_dword v36, off, s[0:3], 0 offset:2564 ; 4-byte Folded Reload
	buffer_load_dword v37, off, s[0:3], 0 offset:2568 ; 4-byte Folded Reload
	buffer_load_dword v38, off, s[0:3], 0 offset:2572 ; 4-byte Folded Reload
	buffer_load_dword v39, off, s[0:3], 0 offset:2576 ; 4-byte Folded Reload
	buffer_load_dword v40, off, s[0:3], 0 offset:2580 ; 4-byte Folded Reload
	buffer_load_dword v41, off, s[0:3], 0 offset:2584 ; 4-byte Folded Reload
	buffer_load_dword v42, off, s[0:3], 0 offset:2588 ; 4-byte Folded Reload
	buffer_load_dword v43, off, s[0:3], 0 offset:2592 ; 4-byte Folded Reload
	buffer_load_dword v44, off, s[0:3], 0 offset:2596 ; 4-byte Folded Reload
	buffer_load_dword v45, off, s[0:3], 0 offset:2600 ; 4-byte Folded Reload
	buffer_load_dword v46, off, s[0:3], 0 offset:2604 ; 4-byte Folded Reload
	buffer_load_dword v47, off, s[0:3], 0 offset:2608 ; 4-byte Folded Reload
	buffer_load_dword v48, off, s[0:3], 0 offset:2612 ; 4-byte Folded Reload
	buffer_load_dword v49, off, s[0:3], 0 offset:2616 ; 4-byte Folded Reload
	buffer_load_dword v50, off, s[0:3], 0 offset:2620 ; 4-byte Folded Reload
	buffer_load_dword v51, off, s[0:3], 0 offset:2624 ; 4-byte Folded Reload
	buffer_load_dword v52, off, s[0:3], 0 offset:2628 ; 4-byte Folded Reload
	buffer_load_dword v53, off, s[0:3], 0 offset:2632 ; 4-byte Folded Reload
	buffer_load_dword v54, off, s[0:3], 0 offset:2636 ; 4-byte Folded Reload
	buffer_load_dword v55, off, s[0:3], 0 offset:2640 ; 4-byte Folded Reload
	buffer_load_dword v56, off, s[0:3], 0 offset:2644 ; 4-byte Folded Reload
	buffer_load_dword v57, off, s[0:3], 0 offset:2648 ; 4-byte Folded Reload
	buffer_load_dword v58, off, s[0:3], 0 offset:2652 ; 4-byte Folded Reload
	buffer_load_dword v59, off, s[0:3], 0 offset:2656 ; 4-byte Folded Reload
	buffer_load_dword v60, off, s[0:3], 0 offset:2660 ; 4-byte Folded Reload
	buffer_load_dword v61, off, s[0:3], 0 offset:2664 ; 4-byte Folded Reload
	buffer_load_dword v62, off, s[0:3], 0 offset:2668 ; 4-byte Folded Reload
	buffer_load_dword v63, off, s[0:3], 0 offset:2672 ; 4-byte Folded Reload
	v_cndmask_b32_e64 v7, v7, v65, s[16:17]
	s_waitcnt vmcnt(18)
	v_mov_b32_e32 v13, v45
	buffer_load_dword v32, off, s[0:3], 0 offset:2420 ; 4-byte Folded Reload
	buffer_load_dword v33, off, s[0:3], 0 offset:2424 ; 4-byte Folded Reload
	buffer_load_dword v34, off, s[0:3], 0 offset:2428 ; 4-byte Folded Reload
	buffer_load_dword v35, off, s[0:3], 0 offset:2432 ; 4-byte Folded Reload
	buffer_load_dword v36, off, s[0:3], 0 offset:2436 ; 4-byte Folded Reload
	buffer_load_dword v37, off, s[0:3], 0 offset:2440 ; 4-byte Folded Reload
	buffer_load_dword v38, off, s[0:3], 0 offset:2444 ; 4-byte Folded Reload
	buffer_load_dword v39, off, s[0:3], 0 offset:2448 ; 4-byte Folded Reload
	buffer_load_dword v40, off, s[0:3], 0 offset:2452 ; 4-byte Folded Reload
	buffer_load_dword v41, off, s[0:3], 0 offset:2456 ; 4-byte Folded Reload
	buffer_load_dword v42, off, s[0:3], 0 offset:2460 ; 4-byte Folded Reload
	buffer_load_dword v43, off, s[0:3], 0 offset:2464 ; 4-byte Folded Reload
	buffer_load_dword v44, off, s[0:3], 0 offset:2468 ; 4-byte Folded Reload
	buffer_load_dword v45, off, s[0:3], 0 offset:2472 ; 4-byte Folded Reload
	buffer_load_dword v46, off, s[0:3], 0 offset:2476 ; 4-byte Folded Reload
	buffer_load_dword v47, off, s[0:3], 0 offset:2480 ; 4-byte Folded Reload
	buffer_load_dword v48, off, s[0:3], 0 offset:2484 ; 4-byte Folded Reload
	buffer_load_dword v49, off, s[0:3], 0 offset:2488 ; 4-byte Folded Reload
	buffer_load_dword v50, off, s[0:3], 0 offset:2492 ; 4-byte Folded Reload
	buffer_load_dword v51, off, s[0:3], 0 offset:2496 ; 4-byte Folded Reload
	buffer_load_dword v52, off, s[0:3], 0 offset:2500 ; 4-byte Folded Reload
	buffer_load_dword v53, off, s[0:3], 0 offset:2504 ; 4-byte Folded Reload
	buffer_load_dword v54, off, s[0:3], 0 offset:2508 ; 4-byte Folded Reload
	buffer_load_dword v55, off, s[0:3], 0 offset:2512 ; 4-byte Folded Reload
	buffer_load_dword v56, off, s[0:3], 0 offset:2516 ; 4-byte Folded Reload
	buffer_load_dword v57, off, s[0:3], 0 offset:2520 ; 4-byte Folded Reload
	buffer_load_dword v58, off, s[0:3], 0 offset:2524 ; 4-byte Folded Reload
	buffer_load_dword v59, off, s[0:3], 0 offset:2528 ; 4-byte Folded Reload
	buffer_load_dword v60, off, s[0:3], 0 offset:2532 ; 4-byte Folded Reload
	buffer_load_dword v61, off, s[0:3], 0 offset:2536 ; 4-byte Folded Reload
	buffer_load_dword v62, off, s[0:3], 0 offset:2540 ; 4-byte Folded Reload
	buffer_load_dword v63, off, s[0:3], 0 offset:2544 ; 4-byte Folded Reload
	v_cndmask_b32_e64 v7, v7, v13, s[18:19]
	;; [unrolled: 35-line block ×4, first 2 shown]
	v_cndmask_b32_e64 v10, v10, v64, s[34:35]
	s_waitcnt vmcnt(19)
	v_mov_b32_e32 v12, v44
	buffer_load_dword v32, off, s[0:3], 0 offset:2932 ; 4-byte Folded Reload
	buffer_load_dword v33, off, s[0:3], 0 offset:2936 ; 4-byte Folded Reload
	;; [unrolled: 1-line block ×32, first 2 shown]
	v_cndmask_b32_e64 v8, v8, v12, s[18:19]
	v_cndmask_b32_e64 v10, v10, v12, s[36:37]
	s_waitcnt vmcnt(17)
	v_mov_b32_e32 v20, v46
	buffer_load_dword v32, off, s[0:3], 0 offset:2292 ; 4-byte Folded Reload
	buffer_load_dword v33, off, s[0:3], 0 offset:2296 ; 4-byte Folded Reload
	;; [unrolled: 1-line block ×32, first 2 shown]
	v_cndmask_b32_e64 v8, v8, v20, s[20:21]
	v_cndmask_b32_e64 v10, v10, v20, s[38:39]
	s_waitcnt vmcnt(14)
	v_mov_b32_e32 v19, v49
	buffer_load_dword v32, off, s[0:3], 0 offset:2804 ; 4-byte Folded Reload
	buffer_load_dword v33, off, s[0:3], 0 offset:2808 ; 4-byte Folded Reload
	buffer_load_dword v34, off, s[0:3], 0 offset:2812 ; 4-byte Folded Reload
	buffer_load_dword v35, off, s[0:3], 0 offset:2816 ; 4-byte Folded Reload
	buffer_load_dword v36, off, s[0:3], 0 offset:2820 ; 4-byte Folded Reload
	buffer_load_dword v37, off, s[0:3], 0 offset:2824 ; 4-byte Folded Reload
	buffer_load_dword v38, off, s[0:3], 0 offset:2828 ; 4-byte Folded Reload
	buffer_load_dword v39, off, s[0:3], 0 offset:2832 ; 4-byte Folded Reload
	buffer_load_dword v40, off, s[0:3], 0 offset:2836 ; 4-byte Folded Reload
	buffer_load_dword v41, off, s[0:3], 0 offset:2840 ; 4-byte Folded Reload
	buffer_load_dword v42, off, s[0:3], 0 offset:2844 ; 4-byte Folded Reload
	buffer_load_dword v43, off, s[0:3], 0 offset:2848 ; 4-byte Folded Reload
	buffer_load_dword v44, off, s[0:3], 0 offset:2852 ; 4-byte Folded Reload
	buffer_load_dword v45, off, s[0:3], 0 offset:2856 ; 4-byte Folded Reload
	buffer_load_dword v46, off, s[0:3], 0 offset:2860 ; 4-byte Folded Reload
	buffer_load_dword v47, off, s[0:3], 0 offset:2864 ; 4-byte Folded Reload
	buffer_load_dword v48, off, s[0:3], 0 offset:2868 ; 4-byte Folded Reload
	buffer_load_dword v49, off, s[0:3], 0 offset:2872 ; 4-byte Folded Reload
	buffer_load_dword v50, off, s[0:3], 0 offset:2876 ; 4-byte Folded Reload
	buffer_load_dword v51, off, s[0:3], 0 offset:2880 ; 4-byte Folded Reload
	buffer_load_dword v52, off, s[0:3], 0 offset:2884 ; 4-byte Folded Reload
	buffer_load_dword v53, off, s[0:3], 0 offset:2888 ; 4-byte Folded Reload
	buffer_load_dword v54, off, s[0:3], 0 offset:2892 ; 4-byte Folded Reload
	buffer_load_dword v55, off, s[0:3], 0 offset:2896 ; 4-byte Folded Reload
	buffer_load_dword v56, off, s[0:3], 0 offset:2900 ; 4-byte Folded Reload
	buffer_load_dword v57, off, s[0:3], 0 offset:2904 ; 4-byte Folded Reload
	buffer_load_dword v58, off, s[0:3], 0 offset:2908 ; 4-byte Folded Reload
	buffer_load_dword v59, off, s[0:3], 0 offset:2912 ; 4-byte Folded Reload
	buffer_load_dword v60, off, s[0:3], 0 offset:2916 ; 4-byte Folded Reload
	buffer_load_dword v61, off, s[0:3], 0 offset:2920 ; 4-byte Folded Reload
	buffer_load_dword v62, off, s[0:3], 0 offset:2924 ; 4-byte Folded Reload
	buffer_load_dword v63, off, s[0:3], 0 offset:2928 ; 4-byte Folded Reload
	buffer_load_dword v125, off, s[0:3], 0 offset:100
	v_cndmask_b32_e64 v9, v7, v19, s[22:23]
	v_cndmask_b32_e64 v7, v111, v103, s[24:25]
	;; [unrolled: 1-line block ×9, first 2 shown]
	s_waitcnt vmcnt(16)
	v_mov_b32_e32 v18, v48
	v_cndmask_b32_e64 v8, v8, v18, s[22:23]
	v_cndmask_b32_e64 v16, v10, v18, s[42:43]
	v_add_f64 v[10:11], -v[8:9], 0
	v_add_f64 v[14:15], v[16:17], -v[8:9]
	v_div_scale_f64 v[22:23], s[40:41], v[14:15], v[14:15], v[10:11]
	v_rcp_f64_e32 v[24:25], v[22:23]
	s_waitcnt vmcnt(0)
	v_cmp_eq_u32_e64 s[44:45], 8, v125
	v_cmp_eq_u32_e64 s[46:47], 7, v125
	;; [unrolled: 1-line block ×3, first 2 shown]
	v_fma_f64 v[26:27], -v[22:23], v[24:25], 1.0
	v_fmac_f64_e32 v[24:25], v[24:25], v[26:27]
	v_fma_f64 v[26:27], -v[22:23], v[24:25], 1.0
	v_fmac_f64_e32 v[24:25], v[24:25], v[26:27]
	v_div_scale_f64 v[26:27], vcc, v[10:11], v[14:15], v[10:11]
	v_mul_f64 v[28:29], v[26:27], v[24:25]
	v_fma_f64 v[22:23], -v[22:23], v[28:29], v[26:27]
	v_cmp_eq_u32_e64 s[50:51], 5, v125
	s_nop 0
	v_div_fmas_f64 v[22:23], v[22:23], v[24:25], v[28:29]
	v_div_fixup_f64 v[156:157], v[22:23], v[14:15], v[10:11]
	v_add_f64 v[166:167], -v[156:157], 1.0
	v_mul_f64 v[148:149], v[8:9], v[166:167]
	v_fmac_f64_e32 v[148:149], v[16:17], v[156:157]
	v_cndmask_b32_e64 v0, v18, v148, s[44:45]
	buffer_store_dword v0, off, s[0:3], 0 offset:2804 ; 4-byte Folded Spill
	v_cndmask_b32_e64 v0, v20, v148, s[46:47]
	buffer_store_dword v0, off, s[0:3], 0 offset:2932 ; 4-byte Folded Spill
	;; [unrolled: 2-line block ×3, first 2 shown]
	buffer_load_dword v154, off, s[0:3], s33 ; 4-byte Folded Reload
	buffer_load_dword v155, off, s[0:3], s33 offset:4 ; 4-byte Folded Reload
	s_mov_b32 s33, 0x48300
	v_cmp_eq_u32_e64 s[40:41], 3, v125
	buffer_load_dword v150, off, s[0:3], s33 ; 4-byte Folded Reload
	buffer_load_dword v151, off, s[0:3], s33 offset:4 ; 4-byte Folded Reload
	s_mov_b32 s33, 0x47f00
	v_cndmask_b32_e64 v146, v64, v148, s[50:51]
	v_cndmask_b32_e64 v106, v65, v149, s[50:51]
	;; [unrolled: 1-line block ×4, first 2 shown]
	buffer_load_dword v64, off, s[0:3], s33 ; 4-byte Folded Reload
	buffer_load_dword v65, off, s[0:3], s33 offset:4 ; 4-byte Folded Reload
	buffer_load_dword v28, off, s[0:3], 0 offset:3444 ; 4-byte Folded Reload
	;; [unrolled: 1-line block ×33, first 2 shown]
	v_cndmask_b32_e64 v114, v19, v149, s[44:45]
	v_cndmask_b32_e64 v113, v21, v149, s[46:47]
	;; [unrolled: 1-line block ×3, first 2 shown]
	v_cmp_eq_u32_e32 vcc, 4, v125
	s_mov_b32 s33, 0x45f00
	v_cndmask_b32_e32 v98, v116, v148, vcc
	v_cndmask_b32_e32 v99, v117, v149, vcc
	v_pk_mov_b32 v[116:117], v[76:77], v[76:77] op_sel:[0,1]
	s_waitcnt vmcnt(34)
	v_cndmask_b32_e64 v7, v151, v155, s[24:25]
	s_waitcnt vmcnt(32)
	v_cndmask_b32_e64 v7, v7, v65, s[26:27]
	s_waitcnt vmcnt(24)
	v_pk_mov_b32 v[62:63], v[34:35], v[34:35] op_sel:[0,1]
	buffer_load_dword v30, off, s[0:3], 0 offset:244 ; 4-byte Folded Reload
	buffer_load_dword v31, off, s[0:3], 0 offset:248 ; 4-byte Folded Reload
	;; [unrolled: 1-line block ×32, first 2 shown]
	v_cndmask_b32_e64 v7, v7, v63, s[28:29]
	s_waitcnt vmcnt(6)
	v_pk_mov_b32 v[54:55], v[38:39], v[38:39] op_sel:[0,1]
	buffer_load_dword v8, off, s[0:3], 0 offset:1652 ; 4-byte Folded Reload
	buffer_load_dword v9, off, s[0:3], 0 offset:1656 ; 4-byte Folded Reload
	;; [unrolled: 1-line block ×32, first 2 shown]
	v_cndmask_b32_e64 v7, v7, v55, s[30:31]
	s_waitcnt vmcnt(20)
	v_mov_b32_e32 v59, v19
	buffer_load_dword v8, off, s[0:3], 0 offset:1524 ; 4-byte Folded Reload
	buffer_load_dword v9, off, s[0:3], 0 offset:1528 ; 4-byte Folded Reload
	;; [unrolled: 1-line block ×64, first 2 shown]
	s_waitcnt vmcnt(55)
	v_cndmask_b32_e64 v16, v150, v154, s[24:25]
	v_cndmask_b32_e64 v16, v16, v64, s[26:27]
	;; [unrolled: 1-line block ×5, first 2 shown]
	s_waitcnt vmcnt(50)
	v_mov_b32_e32 v57, v21
	s_waitcnt vmcnt(0)
	v_mov_b32_e32 v53, v37
	buffer_load_dword v18, off, s[0:3], 0 offset:2164 ; 4-byte Folded Reload
	buffer_load_dword v19, off, s[0:3], 0 offset:2168 ; 4-byte Folded Reload
	;; [unrolled: 1-line block ×32, first 2 shown]
	v_cndmask_b32_e64 v7, v7, v57, s[36:37]
	v_cndmask_b32_e64 v0, v7, v53, s[38:39]
	s_waitcnt vmcnt(21)
	v_mov_b32_e32 v56, v28
	buffer_load_dword v18, off, s[0:3], 0 offset:2036 ; 4-byte Folded Reload
	buffer_load_dword v19, off, s[0:3], 0 offset:2040 ; 4-byte Folded Reload
	;; [unrolled: 1-line block ×32, first 2 shown]
	v_cndmask_b32_e64 v16, v16, v56, s[34:35]
	s_waitcnt vmcnt(19)
	v_mov_b32_e32 v52, v30
	buffer_load_dword v20, off, s[0:3], 0 offset:1908 ; 4-byte Folded Reload
	buffer_load_dword v21, off, s[0:3], 0 offset:1912 ; 4-byte Folded Reload
	;; [unrolled: 1-line block ×32, first 2 shown]
	v_cndmask_b32_e64 v16, v16, v52, s[36:37]
	s_waitcnt vmcnt(17)
	v_cndmask_b32_e64 v1, v16, v34, s[38:39]
	buffer_load_dword v2, off, s[0:3], 0 offset:1268 ; 4-byte Folded Reload
	buffer_load_dword v3, off, s[0:3], 0 offset:1272 ; 4-byte Folded Reload
	;; [unrolled: 1-line block ×32, first 2 shown]
	s_waitcnt vmcnt(14)
	v_mov_b32_e32 v35, v19
	buffer_load_dword v2, off, s[0:3], 0 offset:1780 ; 4-byte Folded Reload
	buffer_load_dword v3, off, s[0:3], 0 offset:1784 ; 4-byte Folded Reload
	;; [unrolled: 1-line block ×32, first 2 shown]
	s_waitcnt vmcnt(26)
	v_cndmask_b32_e64 v7, v151, v155, s[8:9]
	s_waitcnt vmcnt(17)
	v_cndmask_b32_e64 v16, v150, v154, s[8:9]
	v_cndmask_b32_e64 v7, v7, v65, s[10:11]
	;; [unrolled: 1-line block ×13, first 2 shown]
	s_waitcnt vmcnt(16)
	v_cndmask_b32_e64 v17, v7, v35, s[22:23]
	v_cndmask_b32_e64 v39, v0, v35, s[42:43]
	;; [unrolled: 1-line block ×4, first 2 shown]
	s_waitcnt vmcnt(15)
	v_cndmask_b32_e64 v16, v16, v18, s[22:23]
	v_cndmask_b32_e64 v38, v1, v18, s[42:43]
	v_mul_f64 v[126:127], v[16:17], v[166:167]
	v_fmac_f64_e32 v[126:127], v[38:39], v[156:157]
	v_cndmask_b32_e64 v132, v34, v126, s[46:47]
	v_cndmask_b32_e64 v133, v52, v126, s[48:49]
	;; [unrolled: 1-line block ×7, first 2 shown]
	v_cndmask_b32_e32 v118, v54, v126, vcc
	v_cndmask_b32_e32 v120, v55, v127, vcc
	buffer_load_dword v28, off, s[0:3], s33 ; 4-byte Folded Reload
	buffer_load_dword v29, off, s[0:3], s33 offset:4 ; 4-byte Folded Reload
	buffer_load_dword v30, off, s[0:3], s33 offset:8 ; 4-byte Folded Reload
	;; [unrolled: 1-line block ×31, first 2 shown]
	v_cndmask_b32_e64 v131, v18, v126, s[44:45]
	v_cndmask_b32_e64 v119, v62, v126, s[40:41]
	;; [unrolled: 1-line block ×3, first 2 shown]
	s_waitcnt vmcnt(24)
	v_cndmask_b32_e64 v7, v7, v35, s[28:29]
	v_pk_mov_b32 v[8:9], v[34:35], v[34:35] op_sel:[0,1]
	buffer_store_dword v2, off, s[0:3], s33 ; 4-byte Folded Spill
	s_nop 0
	buffer_store_dword v3, off, s[0:3], s33 offset:4 ; 4-byte Folded Spill
	buffer_store_dword v4, off, s[0:3], s33 offset:8 ; 4-byte Folded Spill
	;; [unrolled: 1-line block ×31, first 2 shown]
	buffer_load_dword v12, off, s[0:3], 0 offset:756 ; 4-byte Folded Reload
	s_nop 0
	buffer_load_dword v13, off, s[0:3], 0 offset:760 ; 4-byte Folded Reload
	buffer_load_dword v14, off, s[0:3], 0 offset:764 ; 4-byte Folded Reload
	;; [unrolled: 1-line block ×31, first 2 shown]
	v_cndmask_b32_e64 v7, v7, v117, s[30:31]
	s_waitcnt vmcnt(20)
	v_mov_b32_e32 v143, v23
	buffer_load_dword v12, off, s[0:3], 0 offset:628 ; 4-byte Folded Reload
	buffer_load_dword v13, off, s[0:3], 0 offset:632 ; 4-byte Folded Reload
	;; [unrolled: 1-line block ×32, first 2 shown]
	v_cndmask_b32_e64 v7, v7, v143, s[34:35]
	s_waitcnt vmcnt(18)
	v_mov_b32_e32 v145, v25
	buffer_load_dword v12, off, s[0:3], 0 offset:500 ; 4-byte Folded Reload
	buffer_load_dword v13, off, s[0:3], 0 offset:504 ; 4-byte Folded Reload
	;; [unrolled: 1-line block ×64, first 2 shown]
	s_waitcnt vmcnt(36)
	v_cndmask_b32_e64 v39, v152, v136, s[24:25]
	v_cndmask_b32_e64 v39, v39, v158, s[26:27]
	;; [unrolled: 1-line block ×6, first 2 shown]
	v_mov_b32_e32 v147, v27
	s_waitcnt vmcnt(19)
	v_cndmask_b32_e64 v0, v39, v78, s[36:37]
	buffer_load_dword v32, off, s[0:3], 0 offset:1012 ; 4-byte Folded Reload
	buffer_load_dword v33, off, s[0:3], 0 offset:1016 ; 4-byte Folded Reload
	;; [unrolled: 1-line block ×64, first 2 shown]
	v_cndmask_b32_e64 v7, v7, v147, s[38:39]
	s_waitcnt vmcnt(4)
	v_cndmask_b32_e64 v39, v152, v136, s[8:9]
	v_cndmask_b32_e64 v39, v39, v158, s[10:11]
	;; [unrolled: 1-line block ×7, first 2 shown]
	v_mov_b32_e32 v35, v29
	s_waitcnt vmcnt(2)
	v_cndmask_b32_e64 v41, v7, v35, s[42:43]
	buffer_load_dword v0, off, s[0:3], 0 offset:884 ; 4-byte Folded Reload
	buffer_load_dword v1, off, s[0:3], 0 offset:888 ; 4-byte Folded Reload
	;; [unrolled: 1-line block ×32, first 2 shown]
	s_waitcnt vmcnt(24)
	v_cndmask_b32_e64 v7, v153, v137, s[8:9]
	v_cndmask_b32_e64 v0, v7, v159, s[10:11]
	s_waitcnt vmcnt(15)
	v_mov_b32_e32 v34, v16
	buffer_load_dword v2, off, s[0:3], s33  ; 4-byte Folded Reload
	buffer_load_dword v3, off, s[0:3], s33 offset:4 ; 4-byte Folded Reload
	buffer_load_dword v4, off, s[0:3], s33 offset:8 ; 4-byte Folded Reload
	buffer_load_dword v5, off, s[0:3], s33 offset:12 ; 4-byte Folded Reload
	buffer_load_dword v6, off, s[0:3], s33 offset:16 ; 4-byte Folded Reload
	buffer_load_dword v7, off, s[0:3], s33 offset:20 ; 4-byte Folded Reload
	buffer_load_dword v8, off, s[0:3], s33 offset:24 ; 4-byte Folded Reload
	buffer_load_dword v9, off, s[0:3], s33 offset:28 ; 4-byte Folded Reload
	buffer_load_dword v10, off, s[0:3], s33 offset:32 ; 4-byte Folded Reload
	buffer_load_dword v11, off, s[0:3], s33 offset:36 ; 4-byte Folded Reload
	buffer_load_dword v12, off, s[0:3], s33 offset:40 ; 4-byte Folded Reload
	buffer_load_dword v13, off, s[0:3], s33 offset:44 ; 4-byte Folded Reload
	buffer_load_dword v14, off, s[0:3], s33 offset:48 ; 4-byte Folded Reload
	buffer_load_dword v15, off, s[0:3], s33 offset:52 ; 4-byte Folded Reload
	buffer_load_dword v16, off, s[0:3], s33 offset:56 ; 4-byte Folded Reload
	buffer_load_dword v17, off, s[0:3], s33 offset:60 ; 4-byte Folded Reload
	buffer_load_dword v18, off, s[0:3], s33 offset:64 ; 4-byte Folded Reload
	buffer_load_dword v19, off, s[0:3], s33 offset:68 ; 4-byte Folded Reload
	buffer_load_dword v20, off, s[0:3], s33 offset:72 ; 4-byte Folded Reload
	buffer_load_dword v21, off, s[0:3], s33 offset:76 ; 4-byte Folded Reload
	buffer_load_dword v22, off, s[0:3], s33 offset:80 ; 4-byte Folded Reload
	buffer_load_dword v23, off, s[0:3], s33 offset:84 ; 4-byte Folded Reload
	buffer_load_dword v24, off, s[0:3], s33 offset:88 ; 4-byte Folded Reload
	buffer_load_dword v25, off, s[0:3], s33 offset:92 ; 4-byte Folded Reload
	buffer_load_dword v26, off, s[0:3], s33 offset:96 ; 4-byte Folded Reload
	buffer_load_dword v27, off, s[0:3], s33 offset:100 ; 4-byte Folded Reload
	buffer_load_dword v28, off, s[0:3], s33 offset:104 ; 4-byte Folded Reload
	buffer_load_dword v29, off, s[0:3], s33 offset:108 ; 4-byte Folded Reload
	buffer_load_dword v30, off, s[0:3], s33 offset:112 ; 4-byte Folded Reload
	buffer_load_dword v31, off, s[0:3], s33 offset:116 ; 4-byte Folded Reload
	buffer_load_dword v32, off, s[0:3], s33 offset:120 ; 4-byte Folded Reload
	buffer_load_dword v33, off, s[0:3], s33 offset:124 ; 4-byte Folded Reload
	v_cndmask_b32_e64 v40, v44, v34, s[42:43]
	s_waitcnt vmcnt(19)
	v_cndmask_b32_e64 v14, v162, v160, s[24:25]
	v_cndmask_b32_e64 v14, v14, v164, s[26:27]
	;; [unrolled: 1-line block ×16, first 2 shown]
	v_mul_f64 v[52:53], v[44:45], v[166:167]
	v_fmac_f64_e32 v[52:53], v[40:41], v[156:157]
	v_cndmask_b32_e64 v40, v78, v52, s[48:49]
	buffer_load_dword v66, off, s[0:3], 0 offset:3828 ; 4-byte Folded Reload
	buffer_load_dword v67, off, s[0:3], 0 offset:3832 ; 4-byte Folded Reload
	;; [unrolled: 1-line block ×32, first 2 shown]
	v_pk_mov_b32 v[6:7], v[8:9], v[8:9] op_sel:[0,1]
	v_cndmask_b32_e64 v43, v7, v53, s[40:41]
	v_cndmask_b32_e64 v7, v163, v161, s[8:9]
	s_mov_b32 s8, 0x41d00
	v_cndmask_b32_e64 v7, v7, v165, s[10:11]
	v_cndmask_b32_e64 v7, v7, v101, s[12:13]
	;; [unrolled: 1-line block ×3, first 2 shown]
	v_cmp_eq_u32_e64 s[10:11], 2, v142
	v_cmp_eq_u32_e64 s[12:13], 3, v142
	;; [unrolled: 1-line block ×3, first 2 shown]
	v_cndmask_b32_e64 v42, v6, v52, s[40:41]
	v_cndmask_b32_e64 v44, v34, v52, s[44:45]
	;; [unrolled: 1-line block ×8, first 2 shown]
	v_cndmask_b32_e32 v55, v116, v52, vcc
	v_cndmask_b32_e32 v56, v117, v53, vcc
	s_waitcnt vmcnt(20)
	v_mov_b32_e32 v11, v77
	buffer_load_dword v66, off, s[0:3], 0 offset:3700 ; 4-byte Folded Reload
	buffer_load_dword v67, off, s[0:3], 0 offset:3704 ; 4-byte Folded Reload
	buffer_load_dword v68, off, s[0:3], 0 offset:3708 ; 4-byte Folded Reload
	buffer_load_dword v69, off, s[0:3], 0 offset:3712 ; 4-byte Folded Reload
	buffer_load_dword v70, off, s[0:3], 0 offset:3716 ; 4-byte Folded Reload
	buffer_load_dword v71, off, s[0:3], 0 offset:3720 ; 4-byte Folded Reload
	buffer_load_dword v72, off, s[0:3], 0 offset:3724 ; 4-byte Folded Reload
	buffer_load_dword v73, off, s[0:3], 0 offset:3728 ; 4-byte Folded Reload
	buffer_load_dword v74, off, s[0:3], 0 offset:3732 ; 4-byte Folded Reload
	buffer_load_dword v75, off, s[0:3], 0 offset:3736 ; 4-byte Folded Reload
	buffer_load_dword v76, off, s[0:3], 0 offset:3740 ; 4-byte Folded Reload
	buffer_load_dword v77, off, s[0:3], 0 offset:3744 ; 4-byte Folded Reload
	buffer_load_dword v78, off, s[0:3], 0 offset:3748 ; 4-byte Folded Reload
	buffer_load_dword v79, off, s[0:3], 0 offset:3752 ; 4-byte Folded Reload
	buffer_load_dword v80, off, s[0:3], 0 offset:3756 ; 4-byte Folded Reload
	buffer_load_dword v81, off, s[0:3], 0 offset:3760 ; 4-byte Folded Reload
	buffer_load_dword v82, off, s[0:3], 0 offset:3764 ; 4-byte Folded Reload
	buffer_load_dword v83, off, s[0:3], 0 offset:3768 ; 4-byte Folded Reload
	buffer_load_dword v84, off, s[0:3], 0 offset:3772 ; 4-byte Folded Reload
	buffer_load_dword v85, off, s[0:3], 0 offset:3776 ; 4-byte Folded Reload
	buffer_load_dword v86, off, s[0:3], 0 offset:3780 ; 4-byte Folded Reload
	buffer_load_dword v87, off, s[0:3], 0 offset:3784 ; 4-byte Folded Reload
	buffer_load_dword v88, off, s[0:3], 0 offset:3788 ; 4-byte Folded Reload
	buffer_load_dword v89, off, s[0:3], 0 offset:3792 ; 4-byte Folded Reload
	buffer_load_dword v90, off, s[0:3], 0 offset:3796 ; 4-byte Folded Reload
	buffer_load_dword v91, off, s[0:3], 0 offset:3800 ; 4-byte Folded Reload
	buffer_load_dword v92, off, s[0:3], 0 offset:3804 ; 4-byte Folded Reload
	buffer_load_dword v93, off, s[0:3], 0 offset:3808 ; 4-byte Folded Reload
	buffer_load_dword v94, off, s[0:3], 0 offset:3812 ; 4-byte Folded Reload
	buffer_load_dword v95, off, s[0:3], 0 offset:3816 ; 4-byte Folded Reload
	buffer_load_dword v96, off, s[0:3], 0 offset:3820 ; 4-byte Folded Reload
	buffer_load_dword v97, off, s[0:3], 0 offset:3824 ; 4-byte Folded Reload
	v_cndmask_b32_e64 v7, v7, v11, s[16:17]
	s_waitcnt vmcnt(18)
	v_mov_b32_e32 v13, v79
	buffer_load_dword v66, off, s[0:3], 0 offset:3572 ; 4-byte Folded Reload
	buffer_load_dword v67, off, s[0:3], 0 offset:3576 ; 4-byte Folded Reload
	;; [unrolled: 1-line block ×32, first 2 shown]
	v_cndmask_b32_e64 v7, v7, v13, s[18:19]
	s_waitcnt vmcnt(16)
	v_mov_b32_e32 v19, v81
	buffer_load_dword v66, off, s[0:3], s8  ; 4-byte Folded Reload
	buffer_load_dword v67, off, s[0:3], s8 offset:4 ; 4-byte Folded Reload
	buffer_load_dword v68, off, s[0:3], s8 offset:8 ; 4-byte Folded Reload
	;; [unrolled: 1-line block ×31, first 2 shown]
	s_mov_b32 s8, 0x3fd00
	v_cndmask_b32_e64 v7, v7, v19, s[20:21]
	s_waitcnt vmcnt(21)
	v_mov_b32_e32 v10, v76
	buffer_load_dword v66, off, s[0:3], s8  ; 4-byte Folded Reload
	buffer_load_dword v67, off, s[0:3], s8 offset:4 ; 4-byte Folded Reload
	buffer_load_dword v68, off, s[0:3], s8 offset:8 ; 4-byte Folded Reload
	;; [unrolled: 1-line block ×31, first 2 shown]
	s_mov_b32 s8, 0x43d00
	v_cndmask_b32_e64 v57, v57, v10, s[16:17]
	v_cndmask_b32_e64 v14, v14, v10, s[34:35]
	v_cmp_eq_u32_e64 s[16:17], 5, v142
	s_waitcnt vmcnt(19)
	v_mov_b32_e32 v12, v78
	buffer_load_dword v66, off, s[0:3], 0 offset:3956 ; 4-byte Folded Reload
	buffer_load_dword v67, off, s[0:3], 0 offset:3960 ; 4-byte Folded Reload
	;; [unrolled: 1-line block ×32, first 2 shown]
	v_cndmask_b32_e64 v57, v57, v12, s[18:19]
	v_cndmask_b32_e64 v14, v14, v12, s[36:37]
	v_cmp_eq_u32_e64 s[18:19], 6, v142
	s_waitcnt vmcnt(17)
	v_mov_b32_e32 v18, v80
	buffer_load_dword v66, off, s[0:3], 0 offset:3316 ; 4-byte Folded Reload
	buffer_load_dword v67, off, s[0:3], 0 offset:3320 ; 4-byte Folded Reload
	;; [unrolled: 1-line block ×32, first 2 shown]
	v_cndmask_b32_e64 v57, v57, v18, s[20:21]
	v_cndmask_b32_e64 v14, v14, v18, s[38:39]
	v_cmp_eq_u32_e64 s[20:21], 7, v142
	s_waitcnt vmcnt(14)
	v_mov_b32_e32 v17, v83
	buffer_load_dword v66, off, s[0:3], s8  ; 4-byte Folded Reload
	buffer_load_dword v67, off, s[0:3], s8 offset:4 ; 4-byte Folded Reload
	buffer_load_dword v68, off, s[0:3], s8 offset:8 ; 4-byte Folded Reload
	;; [unrolled: 1-line block ×31, first 2 shown]
	v_cndmask_b32_e64 v59, v7, v17, s[22:23]
	v_cndmask_b32_e64 v7, v163, v161, s[24:25]
	;; [unrolled: 1-line block ×9, first 2 shown]
	v_mov_b32_e32 v7, 16
	v_cmp_eq_u32_e64 s[8:9], 2, v125
	v_cmp_eq_u32_e64 s[28:29], 1, v125
	;; [unrolled: 1-line block ×3, first 2 shown]
	s_waitcnt vmcnt(10)
	v_cndmask_b32_e64 v87, v108, v148, s[8:9]
	s_waitcnt vmcnt(7)
	v_cndmask_b32_e64 v90, v109, v149, s[8:9]
	;; [unrolled: 2-line block ×4, first 2 shown]
	v_cndmask_b32_e64 v75, v64, v126, s[8:9]
	s_waitcnt vmcnt(4)
	v_cndmask_b32_e64 v93, v65, v127, s[8:9]
	v_cndmask_b32_e64 v71, v158, v52, s[8:9]
	;; [unrolled: 1-line block ×3, first 2 shown]
	v_cmp_eq_u32_e64 s[24:25], 1, v124
	v_cndmask_b32_e64 v8, v92, v91, s[24:25]
	v_cmp_eq_u32_e64 s[26:27], 2, v124
	v_cndmask_b32_e64 v8, v8, v90, s[26:27]
	;; [unrolled: 2-line block ×4, first 2 shown]
	v_cndmask_b32_e64 v88, v102, v148, s[28:29]
	v_cndmask_b32_e64 v89, v110, v148, s[34:35]
	;; [unrolled: 1-line block ×7, first 2 shown]
	s_waitcnt vmcnt(3)
	v_cndmask_b32_e64 v94, v155, v127, s[28:29]
	s_waitcnt vmcnt(2)
	v_cndmask_b32_e64 v95, v151, v127, s[34:35]
	v_cndmask_b32_e64 v72, v150, v126, s[34:35]
	buffer_load_dword v3, off, s[0:3], 0 offset:3060 ; 4-byte Folded Reload
	buffer_load_dword v2, off, s[0:3], 0 offset:2932 ; 4-byte Folded Reload
	;; [unrolled: 1-line block ×3, first 2 shown]
	v_mov_b32_e32 v16, v82
	v_cndmask_b32_e64 v58, v57, v16, s[22:23]
	v_mul_f64 v[76:77], v[58:59], v[166:167]
	v_cndmask_b32_e64 v14, v14, v16, s[42:43]
	v_fmac_f64_e32 v[76:77], v[14:15], v[156:157]
	v_cndmask_b32_e64 v15, v10, v76, s[50:51]
	v_lshl_add_u32 v10, v125, 2, v7
	buffer_load_dword v14, v10, s[0:3], 0 offen offset:40
	v_cndmask_b32_e64 v64, v164, v76, s[8:9]
	v_cndmask_b32_e64 v67, v165, v77, s[8:9]
	v_cmp_eq_u32_e64 s[8:9], 1, v142
	v_cndmask_b32_e64 v0, v92, v91, s[8:9]
	v_cndmask_b32_e64 v0, v0, v90, s[10:11]
	;; [unrolled: 1-line block ×6, first 2 shown]
	v_cmp_eq_u32_e64 s[40:41], 5, v124
	v_cndmask_b32_e64 v59, v16, v76, s[44:45]
	v_cndmask_b32_e64 v63, v17, v77, s[44:45]
	;; [unrolled: 1-line block ×4, first 2 shown]
	v_cmp_eq_u32_e64 s[44:45], 6, v124
	v_cndmask_b32_e64 v58, v18, v76, s[46:47]
	v_cndmask_b32_e64 v62, v19, v77, s[46:47]
	;; [unrolled: 1-line block ×4, first 2 shown]
	v_cmp_eq_u32_e64 s[46:47], 7, v124
	v_cndmask_b32_e64 v57, v12, v76, s[48:49]
	v_cndmask_b32_e64 v61, v13, v77, s[48:49]
	;; [unrolled: 1-line block ×3, first 2 shown]
	v_cmp_eq_u32_e64 s[22:23], 8, v142
	v_cndmask_b32_e64 v8, v8, v113, s[46:47]
	v_cmp_eq_u32_e64 s[48:49], 8, v124
	v_cndmask_b32_e64 v60, v11, v77, s[50:51]
	v_cndmask_b32_e64 v11, v8, v114, s[48:49]
	;; [unrolled: 1-line block ×7, first 2 shown]
	v_cndmask_b32_e32 v66, v134, v76, vcc
	v_cndmask_b32_e64 v17, v160, v76, s[28:29]
	v_cndmask_b32_e64 v16, v162, v76, s[34:35]
	v_cndmask_b32_e32 v70, v135, v77, vcc
	s_waitcnt vmcnt(5)
	v_cndmask_b32_e64 v96, v161, v77, s[28:29]
	s_waitcnt vmcnt(4)
	v_cndmask_b32_e64 v97, v163, v77, s[34:35]
	;; [unrolled: 2-line block ×5, first 2 shown]
	s_waitcnt vmcnt(0)
	v_lshl_add_u32 v7, v14, 2, v7
	buffer_load_dword v82, v7, s[0:3], 0 offen offset:40
	v_cndmask_b32_e64 v7, v0, v114, s[22:23]
	v_cndmask_b32_e64 v0, v89, v88, s[8:9]
	;; [unrolled: 1-line block ×9, first 2 shown]
	v_cmp_eq_u32_e64 s[28:29], 3, v14
	v_add_f64 v[0:1], -v[6:7], 0
	v_add_f64 v[8:9], v[10:11], -v[6:7]
	v_div_scale_f64 v[52:53], s[38:39], v[8:9], v[8:9], v[0:1]
	v_rcp_f64_e32 v[80:81], v[52:53]
	v_fma_f64 v[76:77], -v[52:53], v[80:81], 1.0
	v_fmac_f64_e32 v[80:81], v[80:81], v[76:77]
	v_fma_f64 v[76:77], -v[52:53], v[80:81], 1.0
	v_fmac_f64_e32 v[80:81], v[80:81], v[76:77]
	v_div_scale_f64 v[76:77], vcc, v[0:1], v[8:9], v[0:1]
	s_waitcnt vmcnt(0)
	buffer_store_dword v82, off, s[0:3], 0 offset:100
	v_mul_f64 v[82:83], v[76:77], v[80:81]
	v_fma_f64 v[52:53], -v[52:53], v[82:83], v[76:77]
	v_div_fmas_f64 v[52:53], v[52:53], v[80:81], v[82:83]
	v_div_fixup_f64 v[0:1], v[52:53], v[8:9], v[0:1]
	v_add_f64 v[8:9], -v[0:1], 1.0
	v_mul_f64 v[6:7], v[6:7], v[8:9]
	v_fmac_f64_e32 v[6:7], v[10:11], v[0:1]
	v_cmp_eq_u32_e32 vcc, 4, v14
	v_cndmask_b32_e64 v11, v105, v7, s[28:29]
	v_cndmask_b32_e64 v10, v104, v6, s[28:29]
	v_cndmask_b32_e32 v117, v99, v7, vcc
	v_cndmask_b32_e32 v116, v98, v6, vcc
	buffer_store_dword v4, off, s[0:3], 0 offset:116 ; 4-byte Folded Spill
	s_nop 0
	buffer_store_dword v5, off, s[0:3], 0 offset:120 ; 4-byte Folded Spill
	buffer_store_dword v6, off, s[0:3], 0 offset:124 ; 4-byte Folded Spill
	;; [unrolled: 1-line block ×31, first 2 shown]
	v_cndmask_b32_e64 v10, v95, v94, s[24:25]
	v_cndmask_b32_e64 v10, v10, v93, s[26:27]
	;; [unrolled: 1-line block ×32, first 2 shown]
	v_mul_f64 v[10:11], v[10:11], v[8:9]
	v_fmac_f64_e32 v[10:11], v[52:53], v[0:1]
	v_cndmask_b32_e64 v52, v73, v35, s[24:25]
	v_cndmask_b32_e64 v76, v73, v35, s[8:9]
	;; [unrolled: 1-line block ×30, first 2 shown]
	v_cndmask_b32_e32 v29, v120, v11, vcc
	v_cndmask_b32_e32 v28, v118, v10, vcc
	v_cndmask_b32_e64 v52, v52, v44, s[48:49]
	v_cndmask_b32_e64 v76, v76, v44, s[22:23]
	buffer_store_dword v20, off, s[0:3], 0 offset:244 ; 4-byte Folded Spill
	s_nop 0
	buffer_store_dword v21, off, s[0:3], 0 offset:248 ; 4-byte Folded Spill
	buffer_store_dword v22, off, s[0:3], 0 offset:252 ; 4-byte Folded Spill
	;; [unrolled: 1-line block ×31, first 2 shown]
	v_mul_f64 v[80:81], v[76:77], v[8:9]
	v_cndmask_b32_e64 v76, v97, v96, s[8:9]
	v_fmac_f64_e32 v[80:81], v[52:53], v[0:1]
	v_cndmask_b32_e64 v52, v97, v96, s[24:25]
	v_cndmask_b32_e64 v76, v76, v67, s[10:11]
	;; [unrolled: 1-line block ×31, first 2 shown]
	v_mul_f64 v[8:9], v[76:77], v[8:9]
	v_cndmask_b32_e64 v29, v121, v11, s[28:29]
	v_cndmask_b32_e64 v28, v119, v10, s[28:29]
	v_fmac_f64_e32 v[8:9], v[52:53], v[0:1]
	buffer_store_dword v22, off, s[0:3], 0 offset:3444 ; 4-byte Folded Spill
	s_nop 0
	buffer_store_dword v23, off, s[0:3], 0 offset:3448 ; 4-byte Folded Spill
	buffer_store_dword v24, off, s[0:3], 0 offset:3452 ; 4-byte Folded Spill
	;; [unrolled: 1-line block ×31, first 2 shown]
	v_cmp_eq_u32_e64 s[34:35], 2, v14
	v_cndmask_b32_e64 v1, v93, v11, s[34:35]
	v_cndmask_b32_e64 v0, v75, v10, s[34:35]
	s_mov_b32 s8, 0x47f00
	v_cmp_eq_u32_e64 s[38:39], 1, v14
	buffer_store_dword v0, off, s[0:3], s8  ; 4-byte Folded Spill
	s_nop 0
	buffer_store_dword v1, off, s[0:3], s8 offset:4 ; 4-byte Folded Spill
	v_cndmask_b32_e64 v1, v94, v11, s[38:39]
	v_cndmask_b32_e64 v0, v74, v10, s[38:39]
	s_mov_b32 s8, 0x48100
	v_cmp_eq_u32_e64 s[42:43], 0, v14
	buffer_store_dword v0, off, s[0:3], s8  ; 4-byte Folded Spill
	s_nop 0
	buffer_store_dword v1, off, s[0:3], s8 offset:4 ; 4-byte Folded Spill
	v_cndmask_b32_e64 v1, v95, v11, s[42:43]
	v_cndmask_b32_e64 v0, v72, v10, s[42:43]
	s_mov_b32 s8, 0x48300
	buffer_store_dword v0, off, s[0:3], s8  ; 4-byte Folded Spill
	s_nop 0
	buffer_store_dword v1, off, s[0:3], s8 offset:4 ; 4-byte Folded Spill
	s_mov_b32 s8, 0x45f00
	v_cndmask_b32_e32 v77, v56, v81, vcc
	v_cndmask_b32_e32 v76, v55, v80, vcc
	v_cmp_eq_u32_e64 s[12:13], 8, v14
	v_mov_b32_e32 v0, -1
	v_cndmask_b32_e64 v160, v17, v8, s[38:39]
	v_cndmask_b32_e64 v17, v114, v7, s[12:13]
	;; [unrolled: 1-line block ×8, first 2 shown]
	v_cndmask_b32_e32 v135, v70, v9, vcc
	v_cndmask_b32_e64 v101, v68, v9, s[28:29]
	v_cndmask_b32_e64 v161, v96, v9, s[38:39]
	v_cndmask_b32_e64 v163, v97, v9, s[42:43]
	v_cndmask_b32_e64 v162, v16, v8, s[42:43]
	v_cmp_eq_u32_e64 s[10:11], 5, v14
	v_cndmask_b32_e64 v159, v78, v81, s[34:35]
	v_cndmask_b32_e64 v158, v71, v80, s[34:35]
	;; [unrolled: 1-line block ×6, first 2 shown]
	buffer_store_dword v36, off, s[0:3], s8 ; 4-byte Folded Spill
	s_nop 0
	buffer_store_dword v37, off, s[0:3], s8 offset:4 ; 4-byte Folded Spill
	buffer_store_dword v38, off, s[0:3], s8 offset:8 ; 4-byte Folded Spill
	;; [unrolled: 1-line block ×31, first 2 shown]
	v_cmp_eq_u32_e64 s[8:9], 6, v14
	v_cndmask_b32_e64 v137, v35, v81, s[38:39]
	v_cndmask_b32_e64 v136, v34, v80, s[38:39]
	v_cndmask_b32_e32 v134, v66, v8, vcc
	v_cndmask_b32_e64 v100, v65, v8, s[28:29]
	v_cndmask_b32_e64 v165, v67, v9, s[34:35]
	;; [unrolled: 1-line block ×3, first 2 shown]
	v_cmp_eq_u32_e32 vcc, 7, v14
	buffer_store_dword v0, off, s[0:3], 0 offset:2292 ; 4-byte Folded Spill
	s_nop 0
	buffer_store_dword v1, off, s[0:3], 0 offset:2296 ; 4-byte Folded Spill
	buffer_store_dword v2, off, s[0:3], 0 offset:2300 ; 4-byte Folded Spill
	;; [unrolled: 1-line block ×31, first 2 shown]
	v_cndmask_b32_e64 v112, v39, v80, s[10:11]
	v_cndmask_b32_e64 v16, v4, v6, s[12:13]
	buffer_store_dword v0, off, s[0:3], 0 offset:2804 ; 4-byte Folded Spill
	s_nop 0
	buffer_store_dword v1, off, s[0:3], 0 offset:2808 ; 4-byte Folded Spill
	buffer_store_dword v2, off, s[0:3], 0 offset:2812 ; 4-byte Folded Spill
	;; [unrolled: 1-line block ×31, first 2 shown]
	v_cndmask_b32_e32 v17, v113, v7, vcc
	buffer_store_dword v2, off, s[0:3], 0 offset:2420 ; 4-byte Folded Spill
	s_nop 0
	buffer_store_dword v3, off, s[0:3], 0 offset:2424 ; 4-byte Folded Spill
	buffer_store_dword v4, off, s[0:3], 0 offset:2428 ; 4-byte Folded Spill
	;; [unrolled: 1-line block ×31, first 2 shown]
	v_cndmask_b32_e32 v16, v2, v6, vcc
	buffer_store_dword v2, off, s[0:3], 0 offset:2932 ; 4-byte Folded Spill
	s_nop 0
	buffer_store_dword v3, off, s[0:3], 0 offset:2936 ; 4-byte Folded Spill
	buffer_store_dword v4, off, s[0:3], 0 offset:2940 ; 4-byte Folded Spill
	buffer_store_dword v5, off, s[0:3], 0 offset:2944 ; 4-byte Folded Spill
	buffer_store_dword v6, off, s[0:3], 0 offset:2948 ; 4-byte Folded Spill
	buffer_store_dword v7, off, s[0:3], 0 offset:2952 ; 4-byte Folded Spill
	buffer_store_dword v8, off, s[0:3], 0 offset:2956 ; 4-byte Folded Spill
	buffer_store_dword v9, off, s[0:3], 0 offset:2960 ; 4-byte Folded Spill
	buffer_store_dword v10, off, s[0:3], 0 offset:2964 ; 4-byte Folded Spill
	buffer_store_dword v11, off, s[0:3], 0 offset:2968 ; 4-byte Folded Spill
	buffer_store_dword v12, off, s[0:3], 0 offset:2972 ; 4-byte Folded Spill
	buffer_store_dword v13, off, s[0:3], 0 offset:2976 ; 4-byte Folded Spill
	buffer_store_dword v14, off, s[0:3], 0 offset:2980 ; 4-byte Folded Spill
	buffer_store_dword v15, off, s[0:3], 0 offset:2984 ; 4-byte Folded Spill
	buffer_store_dword v16, off, s[0:3], 0 offset:2988 ; 4-byte Folded Spill
	buffer_store_dword v17, off, s[0:3], 0 offset:2992 ; 4-byte Folded Spill
	buffer_store_dword v18, off, s[0:3], 0 offset:2996 ; 4-byte Folded Spill
	buffer_store_dword v19, off, s[0:3], 0 offset:3000 ; 4-byte Folded Spill
	buffer_store_dword v20, off, s[0:3], 0 offset:3004 ; 4-byte Folded Spill
	buffer_store_dword v21, off, s[0:3], 0 offset:3008 ; 4-byte Folded Spill
	buffer_store_dword v22, off, s[0:3], 0 offset:3012 ; 4-byte Folded Spill
	buffer_store_dword v23, off, s[0:3], 0 offset:3016 ; 4-byte Folded Spill
	buffer_store_dword v24, off, s[0:3], 0 offset:3020 ; 4-byte Folded Spill
	buffer_store_dword v25, off, s[0:3], 0 offset:3024 ; 4-byte Folded Spill
	buffer_store_dword v26, off, s[0:3], 0 offset:3028 ; 4-byte Folded Spill
	buffer_store_dword v27, off, s[0:3], 0 offset:3032 ; 4-byte Folded Spill
	buffer_store_dword v28, off, s[0:3], 0 offset:3036 ; 4-byte Folded Spill
	buffer_store_dword v29, off, s[0:3], 0 offset:3040 ; 4-byte Folded Spill
	buffer_store_dword v30, off, s[0:3], 0 offset:3044 ; 4-byte Folded Spill
	buffer_store_dword v31, off, s[0:3], 0 offset:3048 ; 4-byte Folded Spill
	buffer_store_dword v32, off, s[0:3], 0 offset:3052 ; 4-byte Folded Spill
	buffer_store_dword v33, off, s[0:3], 0 offset:3056 ; 4-byte Folded Spill
	v_cndmask_b32_e64 v13, v107, v7, s[8:9]
	buffer_store_dword v0, off, s[0:3], 0 offset:2548 ; 4-byte Folded Spill
	s_nop 0
	buffer_store_dword v1, off, s[0:3], 0 offset:2552 ; 4-byte Folded Spill
	buffer_store_dword v2, off, s[0:3], 0 offset:2556 ; 4-byte Folded Spill
	buffer_store_dword v3, off, s[0:3], 0 offset:2560 ; 4-byte Folded Spill
	buffer_store_dword v4, off, s[0:3], 0 offset:2564 ; 4-byte Folded Spill
	buffer_store_dword v5, off, s[0:3], 0 offset:2568 ; 4-byte Folded Spill
	buffer_store_dword v6, off, s[0:3], 0 offset:2572 ; 4-byte Folded Spill
	buffer_store_dword v7, off, s[0:3], 0 offset:2576 ; 4-byte Folded Spill
	buffer_store_dword v8, off, s[0:3], 0 offset:2580 ; 4-byte Folded Spill
	buffer_store_dword v9, off, s[0:3], 0 offset:2584 ; 4-byte Folded Spill
	buffer_store_dword v10, off, s[0:3], 0 offset:2588 ; 4-byte Folded Spill
	buffer_store_dword v11, off, s[0:3], 0 offset:2592 ; 4-byte Folded Spill
	buffer_store_dword v12, off, s[0:3], 0 offset:2596 ; 4-byte Folded Spill
	buffer_store_dword v13, off, s[0:3], 0 offset:2600 ; 4-byte Folded Spill
	buffer_store_dword v14, off, s[0:3], 0 offset:2604 ; 4-byte Folded Spill
	buffer_store_dword v15, off, s[0:3], 0 offset:2608 ; 4-byte Folded Spill
	buffer_store_dword v16, off, s[0:3], 0 offset:2612 ; 4-byte Folded Spill
	buffer_store_dword v17, off, s[0:3], 0 offset:2616 ; 4-byte Folded Spill
	buffer_store_dword v18, off, s[0:3], 0 offset:2620 ; 4-byte Folded Spill
	buffer_store_dword v19, off, s[0:3], 0 offset:2624 ; 4-byte Folded Spill
	buffer_store_dword v20, off, s[0:3], 0 offset:2628 ; 4-byte Folded Spill
	buffer_store_dword v21, off, s[0:3], 0 offset:2632 ; 4-byte Folded Spill
	buffer_store_dword v22, off, s[0:3], 0 offset:2636 ; 4-byte Folded Spill
	buffer_store_dword v23, off, s[0:3], 0 offset:2640 ; 4-byte Folded Spill
	buffer_store_dword v24, off, s[0:3], 0 offset:2644 ; 4-byte Folded Spill
	buffer_store_dword v25, off, s[0:3], 0 offset:2648 ; 4-byte Folded Spill
	buffer_store_dword v26, off, s[0:3], 0 offset:2652 ; 4-byte Folded Spill
	buffer_store_dword v27, off, s[0:3], 0 offset:2656 ; 4-byte Folded Spill
	buffer_store_dword v28, off, s[0:3], 0 offset:2660 ; 4-byte Folded Spill
	buffer_store_dword v29, off, s[0:3], 0 offset:2664 ; 4-byte Folded Spill
	buffer_store_dword v30, off, s[0:3], 0 offset:2668 ; 4-byte Folded Spill
	buffer_store_dword v31, off, s[0:3], 0 offset:2672 ; 4-byte Folded Spill
	v_cndmask_b32_e64 v12, v3, v6, s[8:9]
	;; [unrolled: 34-line block ×6, first 2 shown]
	buffer_store_dword v0, off, s[0:3], 0 offset:1780 ; 4-byte Folded Spill
	s_nop 0
	buffer_store_dword v1, off, s[0:3], 0 offset:1784 ; 4-byte Folded Spill
	buffer_store_dword v2, off, s[0:3], 0 offset:1788 ; 4-byte Folded Spill
	;; [unrolled: 1-line block ×31, first 2 shown]
	v_cndmask_b32_e32 v17, v128, v11, vcc
	buffer_store_dword v2, off, s[0:3], 0 offset:1396 ; 4-byte Folded Spill
	s_nop 0
	buffer_store_dword v3, off, s[0:3], 0 offset:1400 ; 4-byte Folded Spill
	buffer_store_dword v4, off, s[0:3], 0 offset:1404 ; 4-byte Folded Spill
	;; [unrolled: 1-line block ×31, first 2 shown]
	v_cndmask_b32_e32 v16, v132, v10, vcc
	buffer_store_dword v2, off, s[0:3], 0 offset:1908 ; 4-byte Folded Spill
	s_nop 0
	buffer_store_dword v3, off, s[0:3], 0 offset:1912 ; 4-byte Folded Spill
	buffer_store_dword v4, off, s[0:3], 0 offset:1916 ; 4-byte Folded Spill
	buffer_store_dword v5, off, s[0:3], 0 offset:1920 ; 4-byte Folded Spill
	buffer_store_dword v6, off, s[0:3], 0 offset:1924 ; 4-byte Folded Spill
	buffer_store_dword v7, off, s[0:3], 0 offset:1928 ; 4-byte Folded Spill
	buffer_store_dword v8, off, s[0:3], 0 offset:1932 ; 4-byte Folded Spill
	buffer_store_dword v9, off, s[0:3], 0 offset:1936 ; 4-byte Folded Spill
	buffer_store_dword v10, off, s[0:3], 0 offset:1940 ; 4-byte Folded Spill
	buffer_store_dword v11, off, s[0:3], 0 offset:1944 ; 4-byte Folded Spill
	buffer_store_dword v12, off, s[0:3], 0 offset:1948 ; 4-byte Folded Spill
	buffer_store_dword v13, off, s[0:3], 0 offset:1952 ; 4-byte Folded Spill
	buffer_store_dword v14, off, s[0:3], 0 offset:1956 ; 4-byte Folded Spill
	buffer_store_dword v15, off, s[0:3], 0 offset:1960 ; 4-byte Folded Spill
	buffer_store_dword v16, off, s[0:3], 0 offset:1964 ; 4-byte Folded Spill
	buffer_store_dword v17, off, s[0:3], 0 offset:1968 ; 4-byte Folded Spill
	buffer_store_dword v18, off, s[0:3], 0 offset:1972 ; 4-byte Folded Spill
	buffer_store_dword v19, off, s[0:3], 0 offset:1976 ; 4-byte Folded Spill
	buffer_store_dword v20, off, s[0:3], 0 offset:1980 ; 4-byte Folded Spill
	buffer_store_dword v21, off, s[0:3], 0 offset:1984 ; 4-byte Folded Spill
	buffer_store_dword v22, off, s[0:3], 0 offset:1988 ; 4-byte Folded Spill
	buffer_store_dword v23, off, s[0:3], 0 offset:1992 ; 4-byte Folded Spill
	buffer_store_dword v24, off, s[0:3], 0 offset:1996 ; 4-byte Folded Spill
	buffer_store_dword v25, off, s[0:3], 0 offset:2000 ; 4-byte Folded Spill
	buffer_store_dword v26, off, s[0:3], 0 offset:2004 ; 4-byte Folded Spill
	buffer_store_dword v27, off, s[0:3], 0 offset:2008 ; 4-byte Folded Spill
	buffer_store_dword v28, off, s[0:3], 0 offset:2012 ; 4-byte Folded Spill
	buffer_store_dword v29, off, s[0:3], 0 offset:2016 ; 4-byte Folded Spill
	buffer_store_dword v30, off, s[0:3], 0 offset:2020 ; 4-byte Folded Spill
	buffer_store_dword v31, off, s[0:3], 0 offset:2024 ; 4-byte Folded Spill
	buffer_store_dword v32, off, s[0:3], 0 offset:2028 ; 4-byte Folded Spill
	buffer_store_dword v33, off, s[0:3], 0 offset:2032 ; 4-byte Folded Spill
	v_cndmask_b32_e64 v13, v129, v11, s[8:9]
	buffer_store_dword v0, off, s[0:3], 0 offset:1524 ; 4-byte Folded Spill
	s_nop 0
	buffer_store_dword v1, off, s[0:3], 0 offset:1528 ; 4-byte Folded Spill
	buffer_store_dword v2, off, s[0:3], 0 offset:1532 ; 4-byte Folded Spill
	buffer_store_dword v3, off, s[0:3], 0 offset:1536 ; 4-byte Folded Spill
	buffer_store_dword v4, off, s[0:3], 0 offset:1540 ; 4-byte Folded Spill
	buffer_store_dword v5, off, s[0:3], 0 offset:1544 ; 4-byte Folded Spill
	buffer_store_dword v6, off, s[0:3], 0 offset:1548 ; 4-byte Folded Spill
	buffer_store_dword v7, off, s[0:3], 0 offset:1552 ; 4-byte Folded Spill
	buffer_store_dword v8, off, s[0:3], 0 offset:1556 ; 4-byte Folded Spill
	buffer_store_dword v9, off, s[0:3], 0 offset:1560 ; 4-byte Folded Spill
	buffer_store_dword v10, off, s[0:3], 0 offset:1564 ; 4-byte Folded Spill
	buffer_store_dword v11, off, s[0:3], 0 offset:1568 ; 4-byte Folded Spill
	buffer_store_dword v12, off, s[0:3], 0 offset:1572 ; 4-byte Folded Spill
	buffer_store_dword v13, off, s[0:3], 0 offset:1576 ; 4-byte Folded Spill
	buffer_store_dword v14, off, s[0:3], 0 offset:1580 ; 4-byte Folded Spill
	buffer_store_dword v15, off, s[0:3], 0 offset:1584 ; 4-byte Folded Spill
	buffer_store_dword v16, off, s[0:3], 0 offset:1588 ; 4-byte Folded Spill
	buffer_store_dword v17, off, s[0:3], 0 offset:1592 ; 4-byte Folded Spill
	buffer_store_dword v18, off, s[0:3], 0 offset:1596 ; 4-byte Folded Spill
	buffer_store_dword v19, off, s[0:3], 0 offset:1600 ; 4-byte Folded Spill
	buffer_store_dword v20, off, s[0:3], 0 offset:1604 ; 4-byte Folded Spill
	buffer_store_dword v21, off, s[0:3], 0 offset:1608 ; 4-byte Folded Spill
	buffer_store_dword v22, off, s[0:3], 0 offset:1612 ; 4-byte Folded Spill
	buffer_store_dword v23, off, s[0:3], 0 offset:1616 ; 4-byte Folded Spill
	buffer_store_dword v24, off, s[0:3], 0 offset:1620 ; 4-byte Folded Spill
	buffer_store_dword v25, off, s[0:3], 0 offset:1624 ; 4-byte Folded Spill
	buffer_store_dword v26, off, s[0:3], 0 offset:1628 ; 4-byte Folded Spill
	buffer_store_dword v27, off, s[0:3], 0 offset:1632 ; 4-byte Folded Spill
	buffer_store_dword v28, off, s[0:3], 0 offset:1636 ; 4-byte Folded Spill
	buffer_store_dword v29, off, s[0:3], 0 offset:1640 ; 4-byte Folded Spill
	buffer_store_dword v30, off, s[0:3], 0 offset:1644 ; 4-byte Folded Spill
	buffer_store_dword v31, off, s[0:3], 0 offset:1648 ; 4-byte Folded Spill
	v_cndmask_b32_e64 v12, v133, v10, s[8:9]
	;; [unrolled: 34-line block ×6, first 2 shown]
	buffer_store_dword v0, off, s[0:3], 0 offset:884 ; 4-byte Folded Spill
	s_nop 0
	buffer_store_dword v1, off, s[0:3], 0 offset:888 ; 4-byte Folded Spill
	buffer_store_dword v2, off, s[0:3], 0 offset:892 ; 4-byte Folded Spill
	;; [unrolled: 1-line block ×31, first 2 shown]
	v_cndmask_b32_e32 v17, v47, v81, vcc
	buffer_store_dword v2, off, s[0:3], 0 offset:500 ; 4-byte Folded Spill
	s_nop 0
	buffer_store_dword v3, off, s[0:3], 0 offset:504 ; 4-byte Folded Spill
	buffer_store_dword v4, off, s[0:3], 0 offset:508 ; 4-byte Folded Spill
	;; [unrolled: 1-line block ×31, first 2 shown]
	v_cndmask_b32_e32 v16, v41, v80, vcc
	buffer_store_dword v2, off, s[0:3], 0 offset:1012 ; 4-byte Folded Spill
	s_nop 0
	buffer_store_dword v3, off, s[0:3], 0 offset:1016 ; 4-byte Folded Spill
	buffer_store_dword v4, off, s[0:3], 0 offset:1020 ; 4-byte Folded Spill
	buffer_store_dword v5, off, s[0:3], 0 offset:1024 ; 4-byte Folded Spill
	buffer_store_dword v6, off, s[0:3], 0 offset:1028 ; 4-byte Folded Spill
	buffer_store_dword v7, off, s[0:3], 0 offset:1032 ; 4-byte Folded Spill
	buffer_store_dword v8, off, s[0:3], 0 offset:1036 ; 4-byte Folded Spill
	buffer_store_dword v9, off, s[0:3], 0 offset:1040 ; 4-byte Folded Spill
	buffer_store_dword v10, off, s[0:3], 0 offset:1044 ; 4-byte Folded Spill
	buffer_store_dword v11, off, s[0:3], 0 offset:1048 ; 4-byte Folded Spill
	buffer_store_dword v12, off, s[0:3], 0 offset:1052 ; 4-byte Folded Spill
	buffer_store_dword v13, off, s[0:3], 0 offset:1056 ; 4-byte Folded Spill
	buffer_store_dword v14, off, s[0:3], 0 offset:1060 ; 4-byte Folded Spill
	buffer_store_dword v15, off, s[0:3], 0 offset:1064 ; 4-byte Folded Spill
	buffer_store_dword v16, off, s[0:3], 0 offset:1068 ; 4-byte Folded Spill
	buffer_store_dword v17, off, s[0:3], 0 offset:1072 ; 4-byte Folded Spill
	buffer_store_dword v18, off, s[0:3], 0 offset:1076 ; 4-byte Folded Spill
	buffer_store_dword v19, off, s[0:3], 0 offset:1080 ; 4-byte Folded Spill
	buffer_store_dword v20, off, s[0:3], 0 offset:1084 ; 4-byte Folded Spill
	buffer_store_dword v21, off, s[0:3], 0 offset:1088 ; 4-byte Folded Spill
	buffer_store_dword v22, off, s[0:3], 0 offset:1092 ; 4-byte Folded Spill
	buffer_store_dword v23, off, s[0:3], 0 offset:1096 ; 4-byte Folded Spill
	buffer_store_dword v24, off, s[0:3], 0 offset:1100 ; 4-byte Folded Spill
	buffer_store_dword v25, off, s[0:3], 0 offset:1104 ; 4-byte Folded Spill
	buffer_store_dword v26, off, s[0:3], 0 offset:1108 ; 4-byte Folded Spill
	buffer_store_dword v27, off, s[0:3], 0 offset:1112 ; 4-byte Folded Spill
	buffer_store_dword v28, off, s[0:3], 0 offset:1116 ; 4-byte Folded Spill
	buffer_store_dword v29, off, s[0:3], 0 offset:1120 ; 4-byte Folded Spill
	buffer_store_dword v30, off, s[0:3], 0 offset:1124 ; 4-byte Folded Spill
	buffer_store_dword v31, off, s[0:3], 0 offset:1128 ; 4-byte Folded Spill
	buffer_store_dword v32, off, s[0:3], 0 offset:1132 ; 4-byte Folded Spill
	buffer_store_dword v33, off, s[0:3], 0 offset:1136 ; 4-byte Folded Spill
	v_cndmask_b32_e64 v13, v46, v81, s[8:9]
	buffer_store_dword v0, off, s[0:3], 0 offset:628 ; 4-byte Folded Spill
	s_nop 0
	buffer_store_dword v1, off, s[0:3], 0 offset:632 ; 4-byte Folded Spill
	buffer_store_dword v2, off, s[0:3], 0 offset:636 ; 4-byte Folded Spill
	buffer_store_dword v3, off, s[0:3], 0 offset:640 ; 4-byte Folded Spill
	buffer_store_dword v4, off, s[0:3], 0 offset:644 ; 4-byte Folded Spill
	buffer_store_dword v5, off, s[0:3], 0 offset:648 ; 4-byte Folded Spill
	buffer_store_dword v6, off, s[0:3], 0 offset:652 ; 4-byte Folded Spill
	buffer_store_dword v7, off, s[0:3], 0 offset:656 ; 4-byte Folded Spill
	buffer_store_dword v8, off, s[0:3], 0 offset:660 ; 4-byte Folded Spill
	buffer_store_dword v9, off, s[0:3], 0 offset:664 ; 4-byte Folded Spill
	buffer_store_dword v10, off, s[0:3], 0 offset:668 ; 4-byte Folded Spill
	buffer_store_dword v11, off, s[0:3], 0 offset:672 ; 4-byte Folded Spill
	buffer_store_dword v12, off, s[0:3], 0 offset:676 ; 4-byte Folded Spill
	buffer_store_dword v13, off, s[0:3], 0 offset:680 ; 4-byte Folded Spill
	buffer_store_dword v14, off, s[0:3], 0 offset:684 ; 4-byte Folded Spill
	buffer_store_dword v15, off, s[0:3], 0 offset:688 ; 4-byte Folded Spill
	buffer_store_dword v16, off, s[0:3], 0 offset:692 ; 4-byte Folded Spill
	buffer_store_dword v17, off, s[0:3], 0 offset:696 ; 4-byte Folded Spill
	buffer_store_dword v18, off, s[0:3], 0 offset:700 ; 4-byte Folded Spill
	buffer_store_dword v19, off, s[0:3], 0 offset:704 ; 4-byte Folded Spill
	buffer_store_dword v20, off, s[0:3], 0 offset:708 ; 4-byte Folded Spill
	buffer_store_dword v21, off, s[0:3], 0 offset:712 ; 4-byte Folded Spill
	buffer_store_dword v22, off, s[0:3], 0 offset:716 ; 4-byte Folded Spill
	buffer_store_dword v23, off, s[0:3], 0 offset:720 ; 4-byte Folded Spill
	buffer_store_dword v24, off, s[0:3], 0 offset:724 ; 4-byte Folded Spill
	buffer_store_dword v25, off, s[0:3], 0 offset:728 ; 4-byte Folded Spill
	buffer_store_dword v26, off, s[0:3], 0 offset:732 ; 4-byte Folded Spill
	buffer_store_dword v27, off, s[0:3], 0 offset:736 ; 4-byte Folded Spill
	buffer_store_dword v28, off, s[0:3], 0 offset:740 ; 4-byte Folded Spill
	buffer_store_dword v29, off, s[0:3], 0 offset:744 ; 4-byte Folded Spill
	buffer_store_dword v30, off, s[0:3], 0 offset:748 ; 4-byte Folded Spill
	buffer_store_dword v31, off, s[0:3], 0 offset:752 ; 4-byte Folded Spill
	v_cndmask_b32_e64 v12, v40, v80, s[8:9]
	;; [unrolled: 34-line block ×5, first 2 shown]
	s_mov_b32 s12, 0x43d00
	buffer_store_dword v0, off, s[0:3], s12 ; 4-byte Folded Spill
	s_nop 0
	buffer_store_dword v1, off, s[0:3], s12 offset:4 ; 4-byte Folded Spill
	buffer_store_dword v2, off, s[0:3], s12 offset:8 ; 4-byte Folded Spill
	;; [unrolled: 1-line block ×31, first 2 shown]
	v_cndmask_b32_e32 v17, v62, v9, vcc
	buffer_store_dword v2, off, s[0:3], 0 offset:3572 ; 4-byte Folded Spill
	s_nop 0
	buffer_store_dword v3, off, s[0:3], 0 offset:3576 ; 4-byte Folded Spill
	buffer_store_dword v4, off, s[0:3], 0 offset:3580 ; 4-byte Folded Spill
	;; [unrolled: 1-line block ×31, first 2 shown]
	v_cndmask_b32_e32 v16, v58, v8, vcc
	buffer_store_dword v2, off, s[0:3], 0 offset:3956 ; 4-byte Folded Spill
	s_nop 0
	buffer_store_dword v3, off, s[0:3], 0 offset:3960 ; 4-byte Folded Spill
	buffer_store_dword v4, off, s[0:3], 0 offset:3964 ; 4-byte Folded Spill
	buffer_store_dword v5, off, s[0:3], 0 offset:3968 ; 4-byte Folded Spill
	buffer_store_dword v6, off, s[0:3], 0 offset:3972 ; 4-byte Folded Spill
	buffer_store_dword v7, off, s[0:3], 0 offset:3976 ; 4-byte Folded Spill
	buffer_store_dword v8, off, s[0:3], 0 offset:3980 ; 4-byte Folded Spill
	buffer_store_dword v9, off, s[0:3], 0 offset:3984 ; 4-byte Folded Spill
	buffer_store_dword v10, off, s[0:3], 0 offset:3988 ; 4-byte Folded Spill
	buffer_store_dword v11, off, s[0:3], 0 offset:3992 ; 4-byte Folded Spill
	buffer_store_dword v12, off, s[0:3], 0 offset:3996 ; 4-byte Folded Spill
	buffer_store_dword v13, off, s[0:3], 0 offset:4000 ; 4-byte Folded Spill
	buffer_store_dword v14, off, s[0:3], 0 offset:4004 ; 4-byte Folded Spill
	buffer_store_dword v15, off, s[0:3], 0 offset:4008 ; 4-byte Folded Spill
	buffer_store_dword v16, off, s[0:3], 0 offset:4012 ; 4-byte Folded Spill
	buffer_store_dword v17, off, s[0:3], 0 offset:4016 ; 4-byte Folded Spill
	buffer_store_dword v18, off, s[0:3], 0 offset:4020 ; 4-byte Folded Spill
	buffer_store_dword v19, off, s[0:3], 0 offset:4024 ; 4-byte Folded Spill
	buffer_store_dword v20, off, s[0:3], 0 offset:4028 ; 4-byte Folded Spill
	buffer_store_dword v21, off, s[0:3], 0 offset:4032 ; 4-byte Folded Spill
	buffer_store_dword v22, off, s[0:3], 0 offset:4036 ; 4-byte Folded Spill
	buffer_store_dword v23, off, s[0:3], 0 offset:4040 ; 4-byte Folded Spill
	buffer_store_dword v24, off, s[0:3], 0 offset:4044 ; 4-byte Folded Spill
	buffer_store_dword v25, off, s[0:3], 0 offset:4048 ; 4-byte Folded Spill
	buffer_store_dword v26, off, s[0:3], 0 offset:4052 ; 4-byte Folded Spill
	buffer_store_dword v27, off, s[0:3], 0 offset:4056 ; 4-byte Folded Spill
	buffer_store_dword v28, off, s[0:3], 0 offset:4060 ; 4-byte Folded Spill
	buffer_store_dword v29, off, s[0:3], 0 offset:4064 ; 4-byte Folded Spill
	buffer_store_dword v30, off, s[0:3], 0 offset:4068 ; 4-byte Folded Spill
	buffer_store_dword v31, off, s[0:3], 0 offset:4072 ; 4-byte Folded Spill
	buffer_store_dword v32, off, s[0:3], 0 offset:4076 ; 4-byte Folded Spill
	buffer_store_dword v33, off, s[0:3], 0 offset:4080 ; 4-byte Folded Spill
	v_cndmask_b32_e64 v13, v61, v9, s[8:9]
	buffer_store_dword v0, off, s[0:3], 0 offset:3700 ; 4-byte Folded Spill
	s_nop 0
	buffer_store_dword v1, off, s[0:3], 0 offset:3704 ; 4-byte Folded Spill
	buffer_store_dword v2, off, s[0:3], 0 offset:3708 ; 4-byte Folded Spill
	;; [unrolled: 1-line block ×31, first 2 shown]
	v_cndmask_b32_e64 v12, v57, v8, s[8:9]
	s_mov_b32 s8, 0x3fd00
	buffer_store_dword v0, off, s[0:3], s8  ; 4-byte Folded Spill
	s_nop 0
	buffer_store_dword v1, off, s[0:3], s8 offset:4 ; 4-byte Folded Spill
	buffer_store_dword v2, off, s[0:3], s8 offset:8 ; 4-byte Folded Spill
	;; [unrolled: 1-line block ×31, first 2 shown]
	s_mov_b32 s8, 0x41d00
	v_cndmask_b32_e64 v11, v60, v9, s[10:11]
	buffer_store_dword v0, off, s[0:3], 0 offset:3828 ; 4-byte Folded Spill
	s_nop 0
	buffer_store_dword v1, off, s[0:3], 0 offset:3832 ; 4-byte Folded Spill
	buffer_store_dword v2, off, s[0:3], 0 offset:3836 ; 4-byte Folded Spill
	;; [unrolled: 1-line block ×31, first 2 shown]
	v_cndmask_b32_e64 v10, v15, v8, s[10:11]
	buffer_store_dword v0, off, s[0:3], s8  ; 4-byte Folded Spill
	s_nop 0
	buffer_store_dword v1, off, s[0:3], s8 offset:4 ; 4-byte Folded Spill
	buffer_store_dword v2, off, s[0:3], s8 offset:8 ; 4-byte Folded Spill
	;; [unrolled: 1-line block ×31, first 2 shown]
.LBB0_21:
	s_or_b64 exec, exec, s[58:59]
	s_mov_b64 s[8:9], 0
	buffer_store_dword v0, off, s[0:3], 0 offset:96
	s_mov_b64 s[20:21], exec
	s_mov_b32 s10, 0x47f00
	buffer_load_dword v88, off, s[0:3], s10 ; 4-byte Folded Reload
	buffer_load_dword v89, off, s[0:3], s10 offset:4 ; 4-byte Folded Reload
	s_mov_b32 s10, 0x48100
	buffer_load_dword v104, off, s[0:3], s10 ; 4-byte Folded Reload
	buffer_load_dword v105, off, s[0:3], s10 offset:4 ; 4-byte Folded Reload
	;; [unrolled: 3-line block ×3, first 2 shown]
	buffer_load_dword v22, off, s[0:3], 0 offset:3444 ; 4-byte Folded Reload
	buffer_load_dword v23, off, s[0:3], 0 offset:3448 ; 4-byte Folded Reload
	;; [unrolled: 1-line block ×32, first 2 shown]
	s_and_b64 s[4:5], s[20:21], s[4:5]
	s_waitcnt vmcnt(24)
	v_pk_mov_b32 v[120:121], v[28:29], v[28:29] op_sel:[0,1]
	s_mov_b64 exec, s[4:5]
	s_cbranch_execz .LBB0_31
; %bb.22:
	s_mov_b64 s[22:23], 0
	v_cmp_gt_f64_e32 vcc, 0, v[140:141]
	s_branch .LBB0_24
.LBB0_23:                               ;   in Loop: Header=BB0_24 Depth=1
	s_or_b64 exec, exec, s[4:5]
	v_cmp_gt_i32_e64 s[4:5], 0, v4
	s_or_b64 s[22:23], s[4:5], s[22:23]
	v_mov_b32_e32 v122, v4
	s_andn2_b64 exec, exec, s[22:23]
	s_cbranch_execz .LBB0_30
.LBB0_24:                               ; =>This Inner Loop Header: Depth=1
	buffer_load_dword v44, off, s[0:3], 0 offset:116 ; 4-byte Folded Reload
	buffer_load_dword v45, off, s[0:3], 0 offset:120 ; 4-byte Folded Reload
	;; [unrolled: 1-line block ×64, first 2 shown]
	v_cmp_eq_u32_e64 s[4:5], 1, v122
	v_cndmask_b32_e64 v4, v111, v103, s[4:5]
	v_cmp_eq_u32_e64 s[8:9], 2, v122
	v_cndmask_b32_e64 v4, v4, v109, s[8:9]
	v_cmp_eq_u32_e64 s[10:11], 3, v122
	v_cmp_eq_u32_e64 s[12:13], 4, v122
	v_pk_mov_b32 v[8:9], v[116:117], v[116:117] op_sel:[0,1]
	v_cmp_eq_u32_e64 s[14:15], 5, v122
	v_cmp_eq_u32_e64 s[16:17], 6, v122
	;; [unrolled: 1-line block ×3, first 2 shown]
	v_cndmask_b32_e64 v5, v110, v102, s[4:5]
	v_cndmask_b32_e64 v5, v5, v108, s[8:9]
	v_cmp_eq_u32_e64 s[4:5], 8, v122
	s_mov_b64 s[8:9], 0
	s_waitcnt vmcnt(56)
	v_pk_mov_b32 v[6:7], v[50:51], v[50:51] op_sel:[0,1]
	v_cndmask_b32_e64 v4, v4, v7, s[10:11]
	v_cndmask_b32_e64 v4, v4, v9, s[12:13]
	s_waitcnt vmcnt(20)
	v_cndmask_b32_e64 v4, v4, v27, s[14:15]
	buffer_load_dword v16, off, s[0:3], 0 offset:2548 ; 4-byte Folded Reload
	buffer_load_dword v17, off, s[0:3], 0 offset:2552 ; 4-byte Folded Reload
	;; [unrolled: 1-line block ×32, first 2 shown]
	v_cndmask_b32_e64 v5, v5, v6, s[10:11]
	v_cndmask_b32_e64 v5, v5, v8, s[12:13]
	s_waitcnt vmcnt(18)
	v_cndmask_b32_e64 v4, v4, v29, s[16:17]
	buffer_load_dword v16, off, s[0:3], 0 offset:2420 ; 4-byte Folded Reload
	buffer_load_dword v17, off, s[0:3], 0 offset:2424 ; 4-byte Folded Reload
	buffer_load_dword v18, off, s[0:3], 0 offset:2428 ; 4-byte Folded Reload
	buffer_load_dword v19, off, s[0:3], 0 offset:2432 ; 4-byte Folded Reload
	buffer_load_dword v20, off, s[0:3], 0 offset:2436 ; 4-byte Folded Reload
	buffer_load_dword v21, off, s[0:3], 0 offset:2440 ; 4-byte Folded Reload
	buffer_load_dword v22, off, s[0:3], 0 offset:2444 ; 4-byte Folded Reload
	buffer_load_dword v23, off, s[0:3], 0 offset:2448 ; 4-byte Folded Reload
	buffer_load_dword v24, off, s[0:3], 0 offset:2452 ; 4-byte Folded Reload
	buffer_load_dword v25, off, s[0:3], 0 offset:2456 ; 4-byte Folded Reload
	buffer_load_dword v26, off, s[0:3], 0 offset:2460 ; 4-byte Folded Reload
	buffer_load_dword v27, off, s[0:3], 0 offset:2464 ; 4-byte Folded Reload
	buffer_load_dword v28, off, s[0:3], 0 offset:2468 ; 4-byte Folded Reload
	buffer_load_dword v29, off, s[0:3], 0 offset:2472 ; 4-byte Folded Reload
	buffer_load_dword v30, off, s[0:3], 0 offset:2476 ; 4-byte Folded Reload
	buffer_load_dword v31, off, s[0:3], 0 offset:2480 ; 4-byte Folded Reload
	buffer_load_dword v32, off, s[0:3], 0 offset:2484 ; 4-byte Folded Reload
	buffer_load_dword v33, off, s[0:3], 0 offset:2488 ; 4-byte Folded Reload
	buffer_load_dword v34, off, s[0:3], 0 offset:2492 ; 4-byte Folded Reload
	buffer_load_dword v35, off, s[0:3], 0 offset:2496 ; 4-byte Folded Reload
	buffer_load_dword v36, off, s[0:3], 0 offset:2500 ; 4-byte Folded Reload
	buffer_load_dword v37, off, s[0:3], 0 offset:2504 ; 4-byte Folded Reload
	buffer_load_dword v38, off, s[0:3], 0 offset:2508 ; 4-byte Folded Reload
	buffer_load_dword v39, off, s[0:3], 0 offset:2512 ; 4-byte Folded Reload
	buffer_load_dword v40, off, s[0:3], 0 offset:2516 ; 4-byte Folded Reload
	buffer_load_dword v41, off, s[0:3], 0 offset:2520 ; 4-byte Folded Reload
	buffer_load_dword v42, off, s[0:3], 0 offset:2524 ; 4-byte Folded Reload
	buffer_load_dword v43, off, s[0:3], 0 offset:2528 ; 4-byte Folded Reload
	buffer_load_dword v44, off, s[0:3], 0 offset:2532 ; 4-byte Folded Reload
	buffer_load_dword v45, off, s[0:3], 0 offset:2536 ; 4-byte Folded Reload
	buffer_load_dword v46, off, s[0:3], 0 offset:2540 ; 4-byte Folded Reload
	buffer_load_dword v47, off, s[0:3], 0 offset:2544 ; 4-byte Folded Reload
	s_waitcnt vmcnt(16)
	v_cndmask_b32_e64 v4, v4, v31, s[18:19]
	buffer_load_dword v16, off, s[0:3], 0 offset:3188 ; 4-byte Folded Reload
	buffer_load_dword v17, off, s[0:3], 0 offset:3192 ; 4-byte Folded Reload
	buffer_load_dword v18, off, s[0:3], 0 offset:3196 ; 4-byte Folded Reload
	buffer_load_dword v19, off, s[0:3], 0 offset:3200 ; 4-byte Folded Reload
	buffer_load_dword v20, off, s[0:3], 0 offset:3204 ; 4-byte Folded Reload
	buffer_load_dword v21, off, s[0:3], 0 offset:3208 ; 4-byte Folded Reload
	buffer_load_dword v22, off, s[0:3], 0 offset:3212 ; 4-byte Folded Reload
	buffer_load_dword v23, off, s[0:3], 0 offset:3216 ; 4-byte Folded Reload
	buffer_load_dword v24, off, s[0:3], 0 offset:3220 ; 4-byte Folded Reload
	buffer_load_dword v25, off, s[0:3], 0 offset:3224 ; 4-byte Folded Reload
	buffer_load_dword v26, off, s[0:3], 0 offset:3228 ; 4-byte Folded Reload
	buffer_load_dword v27, off, s[0:3], 0 offset:3232 ; 4-byte Folded Reload
	buffer_load_dword v28, off, s[0:3], 0 offset:3236 ; 4-byte Folded Reload
	buffer_load_dword v29, off, s[0:3], 0 offset:3240 ; 4-byte Folded Reload
	buffer_load_dword v30, off, s[0:3], 0 offset:3244 ; 4-byte Folded Reload
	buffer_load_dword v31, off, s[0:3], 0 offset:3248 ; 4-byte Folded Reload
	buffer_load_dword v32, off, s[0:3], 0 offset:3252 ; 4-byte Folded Reload
	buffer_load_dword v33, off, s[0:3], 0 offset:3256 ; 4-byte Folded Reload
	buffer_load_dword v34, off, s[0:3], 0 offset:3260 ; 4-byte Folded Reload
	buffer_load_dword v35, off, s[0:3], 0 offset:3264 ; 4-byte Folded Reload
	buffer_load_dword v36, off, s[0:3], 0 offset:3268 ; 4-byte Folded Reload
	buffer_load_dword v37, off, s[0:3], 0 offset:3272 ; 4-byte Folded Reload
	buffer_load_dword v38, off, s[0:3], 0 offset:3276 ; 4-byte Folded Reload
	buffer_load_dword v39, off, s[0:3], 0 offset:3280 ; 4-byte Folded Reload
	buffer_load_dword v40, off, s[0:3], 0 offset:3284 ; 4-byte Folded Reload
	buffer_load_dword v41, off, s[0:3], 0 offset:3288 ; 4-byte Folded Reload
	buffer_load_dword v42, off, s[0:3], 0 offset:3292 ; 4-byte Folded Reload
	buffer_load_dword v43, off, s[0:3], 0 offset:3296 ; 4-byte Folded Reload
	buffer_load_dword v44, off, s[0:3], 0 offset:3300 ; 4-byte Folded Reload
	buffer_load_dword v45, off, s[0:3], 0 offset:3304 ; 4-byte Folded Reload
	buffer_load_dword v46, off, s[0:3], 0 offset:3308 ; 4-byte Folded Reload
	buffer_load_dword v47, off, s[0:3], 0 offset:3312 ; 4-byte Folded Reload
	;; [unrolled: 34-line block ×6, first 2 shown]
	s_waitcnt vmcnt(15)
	v_cndmask_b32_e64 v4, v6, v32, s[4:5]
	v_cmp_ngt_f64_e64 s[4:5], 0, v[4:5]
	buffer_load_dword v4, off, s[0:3], 0 offset:112 ; 4-byte Folded Reload
                                        ; implicit-def: $vgpr5
	s_waitcnt vmcnt(0)
	v_lshl_add_u32 v6, v122, 2, v4
	buffer_load_dword v4, v6, s[0:3], 0 offen
	s_and_saveexec_b64 s[10:11], s[4:5]
	s_xor_b64 s[10:11], exec, s[10:11]
	s_cbranch_execz .LBB0_26
; %bb.25:                               ;   in Loop: Header=BB0_24 Depth=1
	buffer_load_dword v5, off, s[0:3], 0 offset:96
                                        ; implicit-def: $vgpr6
	s_waitcnt vmcnt(0)
	v_cmp_eq_u32_e64 s[4:5], -1, v5
	v_mov_b32_e32 v5, 0x60
	s_and_b64 s[8:9], s[4:5], exec
.LBB0_26:                               ;   in Loop: Header=BB0_24 Depth=1
	s_andn2_saveexec_b64 s[4:5], s[10:11]
	s_cbranch_execz .LBB0_28
; %bb.27:                               ;   in Loop: Header=BB0_24 Depth=1
	buffer_load_dword v7, off, s[0:3], 0 offset:100
	v_mov_b32_e32 v5, 0x64
	s_or_b64 s[8:9], s[8:9], exec
	s_waitcnt vmcnt(0)
	buffer_store_dword v7, v6, s[0:3], 0 offen
.LBB0_28:                               ;   in Loop: Header=BB0_24 Depth=1
	s_or_b64 exec, exec, s[4:5]
	s_mov_b64 s[4:5], exec
	buffer_load_dword v22, off, s[0:3], 0 offset:3444 ; 4-byte Folded Reload
	buffer_load_dword v23, off, s[0:3], 0 offset:3448 ; 4-byte Folded Reload
	;; [unrolled: 1-line block ×32, first 2 shown]
	s_and_b64 s[8:9], s[4:5], s[8:9]
	s_waitcnt vmcnt(24)
	v_pk_mov_b32 v[120:121], v[28:29], v[28:29] op_sel:[0,1]
	s_mov_b64 exec, s[8:9]
	s_cbranch_execz .LBB0_23
; %bb.29:                               ;   in Loop: Header=BB0_24 Depth=1
	buffer_store_dword v122, v5, s[0:3], 0 offen
	s_branch .LBB0_23
.LBB0_30:
	s_or_b64 exec, exec, s[22:23]
	s_and_b64 s[8:9], vcc, exec
.LBB0_31:
	s_or_b64 exec, exec, s[20:21]
	s_and_saveexec_b64 s[4:5], s[6:7]
	s_cbranch_execz .LBB0_33
; %bb.32:
	v_mov_b32_e32 v4, 16
	v_cmp_gt_f64_e32 vcc, 0, v[138:139]
	v_lshl_add_u32 v5, v123, 2, v4
	s_or_b64 s[6:7], vcc, s[8:9]
	v_lshl_add_u32 v6, v125, 2, v4
	v_cndmask_b32_e64 v2, v124, -1, s[6:7]
	v_lshl_add_u32 v3, v14, 2, v4
	buffer_store_dword v125, v5, s[0:3], 0 offen offset:40
	buffer_store_dword v14, v6, s[0:3], 0 offen offset:40
	;; [unrolled: 1-line block ×3, first 2 shown]
.LBB0_33:
	s_or_b64 exec, exec, s[4:5]
	buffer_load_dword v125, off, s[0:3], 0 offset:96
	buffer_load_dword v14, off, s[0:3], 0 offset:244 ; 4-byte Folded Reload
	buffer_load_dword v15, off, s[0:3], 0 offset:248 ; 4-byte Folded Reload
	;; [unrolled: 1-line block ×32, first 2 shown]
	v_pk_mov_b32 v[80:81], -1, -1
	v_mov_b32_e32 v126, -1
	v_mov_b32_e32 v127, -1
	v_pk_mov_b32 v[144:145], 0, 0
	s_waitcnt vmcnt(32)
	v_cmp_eq_u32_e32 vcc, 1, v125
	s_waitcnt vmcnt(22)
	v_pk_mov_b32 v[8:9], v[22:23], v[22:23] op_sel:[0,1]
	buffer_load_dword v10, off, s[0:3], 0 offset:1652 ; 4-byte Folded Reload
	buffer_load_dword v11, off, s[0:3], 0 offset:1656 ; 4-byte Folded Reload
	;; [unrolled: 1-line block ×32, first 2 shown]
	v_cndmask_b32_e32 v2, v107, v105, vcc
	v_cmp_eq_u32_e64 s[4:5], 2, v125
	v_cndmask_b32_e64 v2, v2, v89, s[4:5]
	v_cmp_eq_u32_e64 s[6:7], 3, v125
	v_cndmask_b32_e32 v3, v106, v104, vcc
	v_cndmask_b32_e64 v2, v2, v121, s[6:7]
	v_cndmask_b32_e64 v3, v3, v88, s[4:5]
	v_cmp_eq_u32_e32 vcc, 4, v125
	v_cndmask_b32_e32 v2, v2, v9, vcc
	v_cndmask_b32_e64 v3, v3, v120, s[6:7]
	v_cmp_eq_u32_e64 s[4:5], 5, v125
	v_cndmask_b32_e32 v3, v3, v8, vcc
	v_cmp_eq_u32_e32 vcc, 6, v125
	s_waitcnt vmcnt(20)
	v_cndmask_b32_e64 v2, v2, v21, s[4:5]
	buffer_load_dword v4, off, s[0:3], 0 offset:1524 ; 4-byte Folded Reload
	buffer_load_dword v5, off, s[0:3], 0 offset:1528 ; 4-byte Folded Reload
	;; [unrolled: 1-line block ×32, first 2 shown]
	s_waitcnt vmcnt(18)
	v_cndmask_b32_e32 v2, v2, v17, vcc
	buffer_load_dword v4, off, s[0:3], 0 offset:2164 ; 4-byte Folded Reload
	buffer_load_dword v5, off, s[0:3], 0 offset:2168 ; 4-byte Folded Reload
	;; [unrolled: 1-line block ×32, first 2 shown]
	s_waitcnt vmcnt(21)
	v_cndmask_b32_e64 v3, v3, v14, s[4:5]
	buffer_load_dword v4, off, s[0:3], 0 offset:1396 ; 4-byte Folded Reload
	buffer_load_dword v5, off, s[0:3], 0 offset:1400 ; 4-byte Folded Reload
	;; [unrolled: 1-line block ×32, first 2 shown]
	v_cmp_eq_u32_e64 s[4:5], 7, v125
	s_waitcnt vmcnt(16)
	v_cndmask_b32_e64 v2, v2, v19, s[4:5]
	buffer_load_dword v4, off, s[0:3], 0 offset:2036 ; 4-byte Folded Reload
	buffer_load_dword v5, off, s[0:3], 0 offset:2040 ; 4-byte Folded Reload
	;; [unrolled: 1-line block ×32, first 2 shown]
	s_waitcnt vmcnt(19)
	v_cndmask_b32_e32 v3, v3, v16, vcc
	buffer_load_dword v4, off, s[0:3], 0 offset:1908 ; 4-byte Folded Reload
	buffer_load_dword v5, off, s[0:3], 0 offset:1912 ; 4-byte Folded Reload
	;; [unrolled: 1-line block ×32, first 2 shown]
	v_cmp_eq_u32_e32 vcc, 8, v125
	s_waitcnt vmcnt(17)
	v_cndmask_b32_e64 v4, v3, v18, s[4:5]
	buffer_load_dword v6, off, s[0:3], 0 offset:1268 ; 4-byte Folded Reload
	buffer_load_dword v7, off, s[0:3], 0 offset:1272 ; 4-byte Folded Reload
	;; [unrolled: 1-line block ×32, first 2 shown]
	v_cmp_lt_i32_e64 s[4:5], -1, v125
	s_waitcnt vmcnt(14)
	v_cndmask_b32_e32 v143, v2, v23, vcc
	buffer_load_dword v6, off, s[0:3], 0 offset:1780 ; 4-byte Folded Reload
	buffer_load_dword v7, off, s[0:3], 0 offset:1784 ; 4-byte Folded Reload
	;; [unrolled: 1-line block ×32, first 2 shown]
	s_waitcnt vmcnt(28)
	v_pk_mov_b32 v[8:9], v[80:81], v[80:81] op_sel:[0,1]
	s_waitcnt vmcnt(15)
	v_cndmask_b32_e32 v142, v4, v22, vcc
	s_and_saveexec_b64 s[14:15], s[4:5]
	s_cbranch_execz .LBB0_37
; %bb.34:
	buffer_load_dword v18, off, s[0:3], 0 offset:112 ; 4-byte Folded Reload
	buffer_load_dword v20, off, s[0:3], 0 offset:244 ; 4-byte Folded Reload
	;; [unrolled: 1-line block ×65, first 2 shown]
	s_mov_b64 s[16:17], 0
	v_mov_b32_e32 v126, -1
	v_mov_b32_e32 v7, v125
	v_mov_b32_e32 v80, -1
	v_mov_b32_e32 v8, -1
	;; [unrolled: 1-line block ×3, first 2 shown]
	v_pk_mov_b32 v[10:11], v[142:143], v[142:143] op_sel:[0,1]
	s_waitcnt vmcnt(54)
	v_pk_mov_b32 v[20:21], v[28:29], v[28:29] op_sel:[0,1]
	s_waitcnt vmcnt(14)
	v_mov_b32_e32 v17, v47
	buffer_load_dword v30, off, s[0:3], 0 offset:1396 ; 4-byte Folded Reload
	buffer_load_dword v31, off, s[0:3], 0 offset:1400 ; 4-byte Folded Reload
	buffer_load_dword v32, off, s[0:3], 0 offset:1404 ; 4-byte Folded Reload
	buffer_load_dword v33, off, s[0:3], 0 offset:1408 ; 4-byte Folded Reload
	buffer_load_dword v34, off, s[0:3], 0 offset:1412 ; 4-byte Folded Reload
	buffer_load_dword v35, off, s[0:3], 0 offset:1416 ; 4-byte Folded Reload
	buffer_load_dword v36, off, s[0:3], 0 offset:1420 ; 4-byte Folded Reload
	buffer_load_dword v37, off, s[0:3], 0 offset:1424 ; 4-byte Folded Reload
	buffer_load_dword v38, off, s[0:3], 0 offset:1428 ; 4-byte Folded Reload
	buffer_load_dword v39, off, s[0:3], 0 offset:1432 ; 4-byte Folded Reload
	buffer_load_dword v40, off, s[0:3], 0 offset:1436 ; 4-byte Folded Reload
	buffer_load_dword v41, off, s[0:3], 0 offset:1440 ; 4-byte Folded Reload
	buffer_load_dword v42, off, s[0:3], 0 offset:1444 ; 4-byte Folded Reload
	buffer_load_dword v43, off, s[0:3], 0 offset:1448 ; 4-byte Folded Reload
	buffer_load_dword v44, off, s[0:3], 0 offset:1452 ; 4-byte Folded Reload
	buffer_load_dword v45, off, s[0:3], 0 offset:1456 ; 4-byte Folded Reload
	buffer_load_dword v46, off, s[0:3], 0 offset:1460 ; 4-byte Folded Reload
	buffer_load_dword v47, off, s[0:3], 0 offset:1464 ; 4-byte Folded Reload
	buffer_load_dword v48, off, s[0:3], 0 offset:1468 ; 4-byte Folded Reload
	buffer_load_dword v49, off, s[0:3], 0 offset:1472 ; 4-byte Folded Reload
	buffer_load_dword v50, off, s[0:3], 0 offset:1476 ; 4-byte Folded Reload
	buffer_load_dword v51, off, s[0:3], 0 offset:1480 ; 4-byte Folded Reload
	buffer_load_dword v52, off, s[0:3], 0 offset:1484 ; 4-byte Folded Reload
	buffer_load_dword v53, off, s[0:3], 0 offset:1488 ; 4-byte Folded Reload
	buffer_load_dword v54, off, s[0:3], 0 offset:1492 ; 4-byte Folded Reload
	buffer_load_dword v55, off, s[0:3], 0 offset:1496 ; 4-byte Folded Reload
	buffer_load_dword v56, off, s[0:3], 0 offset:1500 ; 4-byte Folded Reload
	buffer_load_dword v57, off, s[0:3], 0 offset:1504 ; 4-byte Folded Reload
	buffer_load_dword v58, off, s[0:3], 0 offset:1508 ; 4-byte Folded Reload
	buffer_load_dword v59, off, s[0:3], 0 offset:1512 ; 4-byte Folded Reload
	buffer_load_dword v60, off, s[0:3], 0 offset:1516 ; 4-byte Folded Reload
	buffer_load_dword v61, off, s[0:3], 0 offset:1520 ; 4-byte Folded Reload
	s_waitcnt vmcnt(16)
	v_mov_b32_e32 v19, v45
	buffer_load_dword v30, off, s[0:3], 0 offset:1524 ; 4-byte Folded Reload
	buffer_load_dword v31, off, s[0:3], 0 offset:1528 ; 4-byte Folded Reload
	buffer_load_dword v32, off, s[0:3], 0 offset:1532 ; 4-byte Folded Reload
	buffer_load_dword v33, off, s[0:3], 0 offset:1536 ; 4-byte Folded Reload
	buffer_load_dword v34, off, s[0:3], 0 offset:1540 ; 4-byte Folded Reload
	buffer_load_dword v35, off, s[0:3], 0 offset:1544 ; 4-byte Folded Reload
	buffer_load_dword v36, off, s[0:3], 0 offset:1548 ; 4-byte Folded Reload
	buffer_load_dword v37, off, s[0:3], 0 offset:1552 ; 4-byte Folded Reload
	buffer_load_dword v38, off, s[0:3], 0 offset:1556 ; 4-byte Folded Reload
	buffer_load_dword v39, off, s[0:3], 0 offset:1560 ; 4-byte Folded Reload
	buffer_load_dword v40, off, s[0:3], 0 offset:1564 ; 4-byte Folded Reload
	buffer_load_dword v41, off, s[0:3], 0 offset:1568 ; 4-byte Folded Reload
	buffer_load_dword v42, off, s[0:3], 0 offset:1572 ; 4-byte Folded Reload
	buffer_load_dword v43, off, s[0:3], 0 offset:1576 ; 4-byte Folded Reload
	buffer_load_dword v44, off, s[0:3], 0 offset:1580 ; 4-byte Folded Reload
	buffer_load_dword v45, off, s[0:3], 0 offset:1584 ; 4-byte Folded Reload
	buffer_load_dword v46, off, s[0:3], 0 offset:1588 ; 4-byte Folded Reload
	buffer_load_dword v47, off, s[0:3], 0 offset:1592 ; 4-byte Folded Reload
	buffer_load_dword v48, off, s[0:3], 0 offset:1596 ; 4-byte Folded Reload
	buffer_load_dword v49, off, s[0:3], 0 offset:1600 ; 4-byte Folded Reload
	buffer_load_dword v50, off, s[0:3], 0 offset:1604 ; 4-byte Folded Reload
	buffer_load_dword v51, off, s[0:3], 0 offset:1608 ; 4-byte Folded Reload
	buffer_load_dword v52, off, s[0:3], 0 offset:1612 ; 4-byte Folded Reload
	buffer_load_dword v53, off, s[0:3], 0 offset:1616 ; 4-byte Folded Reload
	buffer_load_dword v54, off, s[0:3], 0 offset:1620 ; 4-byte Folded Reload
	buffer_load_dword v55, off, s[0:3], 0 offset:1624 ; 4-byte Folded Reload
	buffer_load_dword v56, off, s[0:3], 0 offset:1628 ; 4-byte Folded Reload
	buffer_load_dword v57, off, s[0:3], 0 offset:1632 ; 4-byte Folded Reload
	buffer_load_dword v58, off, s[0:3], 0 offset:1636 ; 4-byte Folded Reload
	buffer_load_dword v59, off, s[0:3], 0 offset:1640 ; 4-byte Folded Reload
	buffer_load_dword v60, off, s[0:3], 0 offset:1644 ; 4-byte Folded Reload
	buffer_load_dword v61, off, s[0:3], 0 offset:1648 ; 4-byte Folded Reload
	s_waitcnt vmcnt(18)
	v_mov_b32_e32 v13, v43
	buffer_load_dword v22, off, s[0:3], 0 offset:1652 ; 4-byte Folded Reload
	buffer_load_dword v23, off, s[0:3], 0 offset:1656 ; 4-byte Folded Reload
	buffer_load_dword v24, off, s[0:3], 0 offset:1660 ; 4-byte Folded Reload
	buffer_load_dword v25, off, s[0:3], 0 offset:1664 ; 4-byte Folded Reload
	buffer_load_dword v26, off, s[0:3], 0 offset:1668 ; 4-byte Folded Reload
	buffer_load_dword v27, off, s[0:3], 0 offset:1672 ; 4-byte Folded Reload
	buffer_load_dword v28, off, s[0:3], 0 offset:1676 ; 4-byte Folded Reload
	buffer_load_dword v29, off, s[0:3], 0 offset:1680 ; 4-byte Folded Reload
	buffer_load_dword v30, off, s[0:3], 0 offset:1684 ; 4-byte Folded Reload
	buffer_load_dword v31, off, s[0:3], 0 offset:1688 ; 4-byte Folded Reload
	buffer_load_dword v32, off, s[0:3], 0 offset:1692 ; 4-byte Folded Reload
	buffer_load_dword v33, off, s[0:3], 0 offset:1696 ; 4-byte Folded Reload
	buffer_load_dword v34, off, s[0:3], 0 offset:1700 ; 4-byte Folded Reload
	buffer_load_dword v35, off, s[0:3], 0 offset:1704 ; 4-byte Folded Reload
	buffer_load_dword v36, off, s[0:3], 0 offset:1708 ; 4-byte Folded Reload
	buffer_load_dword v37, off, s[0:3], 0 offset:1712 ; 4-byte Folded Reload
	buffer_load_dword v38, off, s[0:3], 0 offset:1716 ; 4-byte Folded Reload
	buffer_load_dword v39, off, s[0:3], 0 offset:1720 ; 4-byte Folded Reload
	buffer_load_dword v40, off, s[0:3], 0 offset:1724 ; 4-byte Folded Reload
	buffer_load_dword v41, off, s[0:3], 0 offset:1728 ; 4-byte Folded Reload
	buffer_load_dword v42, off, s[0:3], 0 offset:1732 ; 4-byte Folded Reload
	buffer_load_dword v43, off, s[0:3], 0 offset:1736 ; 4-byte Folded Reload
	buffer_load_dword v44, off, s[0:3], 0 offset:1740 ; 4-byte Folded Reload
	buffer_load_dword v45, off, s[0:3], 0 offset:1744 ; 4-byte Folded Reload
	buffer_load_dword v46, off, s[0:3], 0 offset:1748 ; 4-byte Folded Reload
	buffer_load_dword v47, off, s[0:3], 0 offset:1752 ; 4-byte Folded Reload
	buffer_load_dword v48, off, s[0:3], 0 offset:1756 ; 4-byte Folded Reload
	buffer_load_dword v49, off, s[0:3], 0 offset:1760 ; 4-byte Folded Reload
	buffer_load_dword v50, off, s[0:3], 0 offset:1764 ; 4-byte Folded Reload
	buffer_load_dword v51, off, s[0:3], 0 offset:1768 ; 4-byte Folded Reload
	buffer_load_dword v52, off, s[0:3], 0 offset:1772 ; 4-byte Folded Reload
	buffer_load_dword v53, off, s[0:3], 0 offset:1776 ; 4-byte Folded Reload
	s_waitcnt vmcnt(20)
	v_mov_b32_e32 v23, v33
	buffer_load_dword v24, off, s[0:3], 0 offset:1780 ; 4-byte Folded Reload
	buffer_load_dword v25, off, s[0:3], 0 offset:1784 ; 4-byte Folded Reload
	buffer_load_dword v26, off, s[0:3], 0 offset:1788 ; 4-byte Folded Reload
	buffer_load_dword v27, off, s[0:3], 0 offset:1792 ; 4-byte Folded Reload
	buffer_load_dword v28, off, s[0:3], 0 offset:1796 ; 4-byte Folded Reload
	buffer_load_dword v29, off, s[0:3], 0 offset:1800 ; 4-byte Folded Reload
	buffer_load_dword v30, off, s[0:3], 0 offset:1804 ; 4-byte Folded Reload
	buffer_load_dword v31, off, s[0:3], 0 offset:1808 ; 4-byte Folded Reload
	buffer_load_dword v32, off, s[0:3], 0 offset:1812 ; 4-byte Folded Reload
	buffer_load_dword v33, off, s[0:3], 0 offset:1816 ; 4-byte Folded Reload
	buffer_load_dword v34, off, s[0:3], 0 offset:1820 ; 4-byte Folded Reload
	buffer_load_dword v35, off, s[0:3], 0 offset:1824 ; 4-byte Folded Reload
	buffer_load_dword v36, off, s[0:3], 0 offset:1828 ; 4-byte Folded Reload
	buffer_load_dword v37, off, s[0:3], 0 offset:1832 ; 4-byte Folded Reload
	buffer_load_dword v38, off, s[0:3], 0 offset:1836 ; 4-byte Folded Reload
	buffer_load_dword v39, off, s[0:3], 0 offset:1840 ; 4-byte Folded Reload
	buffer_load_dword v40, off, s[0:3], 0 offset:1844 ; 4-byte Folded Reload
	buffer_load_dword v41, off, s[0:3], 0 offset:1848 ; 4-byte Folded Reload
	buffer_load_dword v42, off, s[0:3], 0 offset:1852 ; 4-byte Folded Reload
	buffer_load_dword v43, off, s[0:3], 0 offset:1856 ; 4-byte Folded Reload
	buffer_load_dword v44, off, s[0:3], 0 offset:1860 ; 4-byte Folded Reload
	buffer_load_dword v45, off, s[0:3], 0 offset:1864 ; 4-byte Folded Reload
	buffer_load_dword v46, off, s[0:3], 0 offset:1868 ; 4-byte Folded Reload
	buffer_load_dword v47, off, s[0:3], 0 offset:1872 ; 4-byte Folded Reload
	buffer_load_dword v48, off, s[0:3], 0 offset:1876 ; 4-byte Folded Reload
	buffer_load_dword v49, off, s[0:3], 0 offset:1880 ; 4-byte Folded Reload
	buffer_load_dword v50, off, s[0:3], 0 offset:1884 ; 4-byte Folded Reload
	buffer_load_dword v51, off, s[0:3], 0 offset:1888 ; 4-byte Folded Reload
	buffer_load_dword v52, off, s[0:3], 0 offset:1892 ; 4-byte Folded Reload
	buffer_load_dword v53, off, s[0:3], 0 offset:1896 ; 4-byte Folded Reload
	buffer_load_dword v54, off, s[0:3], 0 offset:1900 ; 4-byte Folded Reload
	buffer_load_dword v55, off, s[0:3], 0 offset:1904 ; 4-byte Folded Reload
	s_waitcnt vmcnt(15)
	v_mov_b32_e32 v16, v40
	buffer_load_dword v24, off, s[0:3], 0 offset:1908 ; 4-byte Folded Reload
	buffer_load_dword v25, off, s[0:3], 0 offset:1912 ; 4-byte Folded Reload
	buffer_load_dword v26, off, s[0:3], 0 offset:1916 ; 4-byte Folded Reload
	buffer_load_dword v27, off, s[0:3], 0 offset:1920 ; 4-byte Folded Reload
	buffer_load_dword v28, off, s[0:3], 0 offset:1924 ; 4-byte Folded Reload
	buffer_load_dword v29, off, s[0:3], 0 offset:1928 ; 4-byte Folded Reload
	buffer_load_dword v30, off, s[0:3], 0 offset:1932 ; 4-byte Folded Reload
	buffer_load_dword v31, off, s[0:3], 0 offset:1936 ; 4-byte Folded Reload
	buffer_load_dword v32, off, s[0:3], 0 offset:1940 ; 4-byte Folded Reload
	buffer_load_dword v33, off, s[0:3], 0 offset:1944 ; 4-byte Folded Reload
	buffer_load_dword v34, off, s[0:3], 0 offset:1948 ; 4-byte Folded Reload
	buffer_load_dword v35, off, s[0:3], 0 offset:1952 ; 4-byte Folded Reload
	buffer_load_dword v36, off, s[0:3], 0 offset:1956 ; 4-byte Folded Reload
	buffer_load_dword v37, off, s[0:3], 0 offset:1960 ; 4-byte Folded Reload
	buffer_load_dword v38, off, s[0:3], 0 offset:1964 ; 4-byte Folded Reload
	buffer_load_dword v39, off, s[0:3], 0 offset:1968 ; 4-byte Folded Reload
	buffer_load_dword v40, off, s[0:3], 0 offset:1972 ; 4-byte Folded Reload
	buffer_load_dword v41, off, s[0:3], 0 offset:1976 ; 4-byte Folded Reload
	buffer_load_dword v42, off, s[0:3], 0 offset:1980 ; 4-byte Folded Reload
	buffer_load_dword v43, off, s[0:3], 0 offset:1984 ; 4-byte Folded Reload
	buffer_load_dword v44, off, s[0:3], 0 offset:1988 ; 4-byte Folded Reload
	buffer_load_dword v45, off, s[0:3], 0 offset:1992 ; 4-byte Folded Reload
	buffer_load_dword v46, off, s[0:3], 0 offset:1996 ; 4-byte Folded Reload
	buffer_load_dword v47, off, s[0:3], 0 offset:2000 ; 4-byte Folded Reload
	buffer_load_dword v48, off, s[0:3], 0 offset:2004 ; 4-byte Folded Reload
	buffer_load_dword v49, off, s[0:3], 0 offset:2008 ; 4-byte Folded Reload
	buffer_load_dword v50, off, s[0:3], 0 offset:2012 ; 4-byte Folded Reload
	buffer_load_dword v51, off, s[0:3], 0 offset:2016 ; 4-byte Folded Reload
	buffer_load_dword v52, off, s[0:3], 0 offset:2020 ; 4-byte Folded Reload
	buffer_load_dword v53, off, s[0:3], 0 offset:2024 ; 4-byte Folded Reload
	buffer_load_dword v54, off, s[0:3], 0 offset:2028 ; 4-byte Folded Reload
	buffer_load_dword v55, off, s[0:3], 0 offset:2032 ; 4-byte Folded Reload
	s_waitcnt vmcnt(17)
	v_mov_b32_e32 v22, v38
	buffer_load_dword v24, off, s[0:3], 0 offset:2036 ; 4-byte Folded Reload
	buffer_load_dword v25, off, s[0:3], 0 offset:2040 ; 4-byte Folded Reload
	buffer_load_dword v26, off, s[0:3], 0 offset:2044 ; 4-byte Folded Reload
	buffer_load_dword v27, off, s[0:3], 0 offset:2048 ; 4-byte Folded Reload
	buffer_load_dword v28, off, s[0:3], 0 offset:2052 ; 4-byte Folded Reload
	buffer_load_dword v29, off, s[0:3], 0 offset:2056 ; 4-byte Folded Reload
	buffer_load_dword v30, off, s[0:3], 0 offset:2060 ; 4-byte Folded Reload
	buffer_load_dword v31, off, s[0:3], 0 offset:2064 ; 4-byte Folded Reload
	buffer_load_dword v32, off, s[0:3], 0 offset:2068 ; 4-byte Folded Reload
	buffer_load_dword v33, off, s[0:3], 0 offset:2072 ; 4-byte Folded Reload
	buffer_load_dword v34, off, s[0:3], 0 offset:2076 ; 4-byte Folded Reload
	buffer_load_dword v35, off, s[0:3], 0 offset:2080 ; 4-byte Folded Reload
	buffer_load_dword v36, off, s[0:3], 0 offset:2084 ; 4-byte Folded Reload
	buffer_load_dword v37, off, s[0:3], 0 offset:2088 ; 4-byte Folded Reload
	buffer_load_dword v38, off, s[0:3], 0 offset:2092 ; 4-byte Folded Reload
	buffer_load_dword v39, off, s[0:3], 0 offset:2096 ; 4-byte Folded Reload
	buffer_load_dword v40, off, s[0:3], 0 offset:2100 ; 4-byte Folded Reload
	buffer_load_dword v41, off, s[0:3], 0 offset:2104 ; 4-byte Folded Reload
	buffer_load_dword v42, off, s[0:3], 0 offset:2108 ; 4-byte Folded Reload
	buffer_load_dword v43, off, s[0:3], 0 offset:2112 ; 4-byte Folded Reload
	buffer_load_dword v44, off, s[0:3], 0 offset:2116 ; 4-byte Folded Reload
	buffer_load_dword v45, off, s[0:3], 0 offset:2120 ; 4-byte Folded Reload
	buffer_load_dword v46, off, s[0:3], 0 offset:2124 ; 4-byte Folded Reload
	buffer_load_dword v47, off, s[0:3], 0 offset:2128 ; 4-byte Folded Reload
	buffer_load_dword v48, off, s[0:3], 0 offset:2132 ; 4-byte Folded Reload
	buffer_load_dword v49, off, s[0:3], 0 offset:2136 ; 4-byte Folded Reload
	buffer_load_dword v50, off, s[0:3], 0 offset:2140 ; 4-byte Folded Reload
	buffer_load_dword v51, off, s[0:3], 0 offset:2144 ; 4-byte Folded Reload
	buffer_load_dword v52, off, s[0:3], 0 offset:2148 ; 4-byte Folded Reload
	buffer_load_dword v53, off, s[0:3], 0 offset:2152 ; 4-byte Folded Reload
	buffer_load_dword v54, off, s[0:3], 0 offset:2156 ; 4-byte Folded Reload
	buffer_load_dword v55, off, s[0:3], 0 offset:2160 ; 4-byte Folded Reload
	s_waitcnt vmcnt(19)
	v_mov_b32_e32 v24, v36
	buffer_load_dword v26, off, s[0:3], 0 offset:2164 ; 4-byte Folded Reload
	buffer_load_dword v27, off, s[0:3], 0 offset:2168 ; 4-byte Folded Reload
	buffer_load_dword v28, off, s[0:3], 0 offset:2172 ; 4-byte Folded Reload
	buffer_load_dword v29, off, s[0:3], 0 offset:2176 ; 4-byte Folded Reload
	buffer_load_dword v30, off, s[0:3], 0 offset:2180 ; 4-byte Folded Reload
	buffer_load_dword v31, off, s[0:3], 0 offset:2184 ; 4-byte Folded Reload
	buffer_load_dword v32, off, s[0:3], 0 offset:2188 ; 4-byte Folded Reload
	buffer_load_dword v33, off, s[0:3], 0 offset:2192 ; 4-byte Folded Reload
	buffer_load_dword v34, off, s[0:3], 0 offset:2196 ; 4-byte Folded Reload
	buffer_load_dword v35, off, s[0:3], 0 offset:2200 ; 4-byte Folded Reload
	buffer_load_dword v36, off, s[0:3], 0 offset:2204 ; 4-byte Folded Reload
	buffer_load_dword v37, off, s[0:3], 0 offset:2208 ; 4-byte Folded Reload
	buffer_load_dword v38, off, s[0:3], 0 offset:2212 ; 4-byte Folded Reload
	buffer_load_dword v39, off, s[0:3], 0 offset:2216 ; 4-byte Folded Reload
	buffer_load_dword v40, off, s[0:3], 0 offset:2220 ; 4-byte Folded Reload
	buffer_load_dword v41, off, s[0:3], 0 offset:2224 ; 4-byte Folded Reload
	buffer_load_dword v42, off, s[0:3], 0 offset:2228 ; 4-byte Folded Reload
	buffer_load_dword v43, off, s[0:3], 0 offset:2232 ; 4-byte Folded Reload
	buffer_load_dword v44, off, s[0:3], 0 offset:2236 ; 4-byte Folded Reload
	buffer_load_dword v45, off, s[0:3], 0 offset:2240 ; 4-byte Folded Reload
	buffer_load_dword v46, off, s[0:3], 0 offset:2244 ; 4-byte Folded Reload
	buffer_load_dword v47, off, s[0:3], 0 offset:2248 ; 4-byte Folded Reload
	buffer_load_dword v48, off, s[0:3], 0 offset:2252 ; 4-byte Folded Reload
	buffer_load_dword v49, off, s[0:3], 0 offset:2256 ; 4-byte Folded Reload
	buffer_load_dword v50, off, s[0:3], 0 offset:2260 ; 4-byte Folded Reload
	buffer_load_dword v51, off, s[0:3], 0 offset:2264 ; 4-byte Folded Reload
	buffer_load_dword v52, off, s[0:3], 0 offset:2268 ; 4-byte Folded Reload
	buffer_load_dword v53, off, s[0:3], 0 offset:2272 ; 4-byte Folded Reload
	buffer_load_dword v54, off, s[0:3], 0 offset:2276 ; 4-byte Folded Reload
	buffer_load_dword v55, off, s[0:3], 0 offset:2280 ; 4-byte Folded Reload
	buffer_load_dword v56, off, s[0:3], 0 offset:2284 ; 4-byte Folded Reload
	buffer_load_dword v57, off, s[0:3], 0 offset:2288 ; 4-byte Folded Reload
	s_waitcnt vmcnt(21)
	v_mov_b32_e32 v26, v36
.LBB0_35:                               ; =>This Inner Loop Header: Depth=1
	v_lshl_add_u32 v4, v7, 2, v18
	buffer_load_dword v9, v4, s[0:3], 0 offen
	v_pk_mov_b32 v[144:145], v[10:11], v[10:11] op_sel:[0,1]
	s_waitcnt vmcnt(0)
	v_cmp_gt_i32_e32 vcc, 0, v9
	v_cndmask_b32_e32 v12, v9, v125, vcc
	v_cmp_eq_u32_e64 s[6:7], 1, v12
	v_cndmask_b32_e64 v4, v107, v105, s[6:7]
	v_cmp_eq_u32_e64 s[8:9], 2, v12
	v_cndmask_b32_e64 v5, v106, v104, s[6:7]
	v_cndmask_b32_e64 v4, v4, v89, s[8:9]
	v_cmp_eq_u32_e64 s[10:11], 3, v12
	v_cndmask_b32_e64 v5, v5, v88, s[8:9]
	v_cndmask_b32_e64 v4, v4, v121, s[10:11]
	v_cmp_eq_u32_e64 s[6:7], 4, v12
	v_cndmask_b32_e64 v5, v5, v120, s[10:11]
	v_cndmask_b32_e64 v4, v4, v21, s[6:7]
	v_cmp_eq_u32_e64 s[8:9], 5, v12
	v_cndmask_b32_e64 v5, v5, v20, s[6:7]
	v_cndmask_b32_e64 v4, v4, v23, s[8:9]
	v_cmp_eq_u32_e64 s[6:7], 6, v12
	v_cndmask_b32_e64 v5, v5, v26, s[8:9]
	v_cndmask_b32_e64 v4, v4, v13, s[6:7]
	v_cmp_eq_u32_e64 s[8:9], 7, v12
	v_cndmask_b32_e64 v5, v5, v24, s[6:7]
	v_cndmask_b32_e64 v4, v4, v19, s[8:9]
	v_cndmask_b32_e64 v5, v5, v22, s[8:9]
	v_cmp_eq_u32_e64 s[6:7], 8, v12
	v_cndmask_b32_e64 v15, v4, v17, s[6:7]
	v_cndmask_b32_e64 v14, v5, v16, s[6:7]
	v_cmp_le_f64_e64 s[6:7], 0, v[144:145]
	v_cmp_gt_f64_e64 s[8:9], 0, v[144:145]
	v_cmp_gt_f64_e64 s[10:11], 0, v[14:15]
	v_cmp_le_f64_e64 s[12:13], 0, v[14:15]
	s_and_b64 s[6:7], s[6:7], s[10:11]
	s_and_b64 s[8:9], s[8:9], s[12:13]
	v_cndmask_b32_e64 v8, v8, v12, s[6:7]
	v_cndmask_b32_e64 v127, v127, v12, s[8:9]
	;; [unrolled: 1-line block ×4, first 2 shown]
	s_or_b64 s[16:17], vcc, s[16:17]
	v_mov_b32_e32 v7, v9
	v_pk_mov_b32 v[10:11], v[14:15], v[14:15] op_sel:[0,1]
	s_andn2_b64 exec, exec, s[16:17]
	s_cbranch_execnz .LBB0_35
; %bb.36:
	s_or_b64 exec, exec, s[16:17]
.LBB0_37:
	s_or_b64 exec, exec, s[14:15]
	v_cmp_lt_i32_e64 s[6:7], -1, v126
	v_mov_b32_e32 v129, -1
	v_mov_b32_e32 v128, -1
	;; [unrolled: 1-line block ×3, first 2 shown]
	s_and_saveexec_b64 s[58:59], s[6:7]
	s_cbranch_execz .LBB0_39
; %bb.38:
	buffer_load_dword v20, off, s[0:3], 0 offset:244 ; 4-byte Folded Reload
	buffer_load_dword v21, off, s[0:3], 0 offset:248 ; 4-byte Folded Reload
	;; [unrolled: 1-line block ×32, first 2 shown]
	v_cmp_eq_u32_e64 s[8:9], 1, v8
	v_cndmask_b32_e64 v7, v107, v105, s[8:9]
	v_cmp_eq_u32_e64 s[10:11], 2, v8
	v_cmp_eq_u32_e64 s[12:13], 3, v8
	;; [unrolled: 1-line block ×7, first 2 shown]
	v_cndmask_b32_e64 v8, v106, v104, s[8:9]
	v_cndmask_b32_e64 v7, v7, v89, s[10:11]
	;; [unrolled: 1-line block ×5, first 2 shown]
	v_cmp_eq_u32_e64 s[24:25], 1, v126
	v_cmp_eq_u32_e64 s[26:27], 2, v126
	;; [unrolled: 1-line block ×8, first 2 shown]
	v_pk_mov_b32 v[64:65], v[88:89], v[88:89] op_sel:[0,1]
	v_pk_mov_b32 v[56:57], v[120:121], v[120:121] op_sel:[0,1]
	s_mov_b32 s33, 0x45f00
	s_waitcnt vmcnt(22)
	v_pk_mov_b32 v[62:63], v[28:29], v[28:29] op_sel:[0,1]
	buffer_load_dword v10, off, s[0:3], 0 offset:1652 ; 4-byte Folded Reload
	buffer_load_dword v11, off, s[0:3], 0 offset:1656 ; 4-byte Folded Reload
	;; [unrolled: 1-line block ×32, first 2 shown]
	v_cndmask_b32_e64 v7, v7, v63, s[14:15]
	v_cndmask_b32_e64 v8, v8, v62, s[14:15]
	s_waitcnt vmcnt(20)
	v_mov_b32_e32 v75, v21
	buffer_load_dword v10, off, s[0:3], 0 offset:1524 ; 4-byte Folded Reload
	buffer_load_dword v11, off, s[0:3], 0 offset:1528 ; 4-byte Folded Reload
	buffer_load_dword v12, off, s[0:3], 0 offset:1532 ; 4-byte Folded Reload
	buffer_load_dword v13, off, s[0:3], 0 offset:1536 ; 4-byte Folded Reload
	buffer_load_dword v14, off, s[0:3], 0 offset:1540 ; 4-byte Folded Reload
	buffer_load_dword v15, off, s[0:3], 0 offset:1544 ; 4-byte Folded Reload
	buffer_load_dword v16, off, s[0:3], 0 offset:1548 ; 4-byte Folded Reload
	buffer_load_dword v17, off, s[0:3], 0 offset:1552 ; 4-byte Folded Reload
	buffer_load_dword v18, off, s[0:3], 0 offset:1556 ; 4-byte Folded Reload
	buffer_load_dword v19, off, s[0:3], 0 offset:1560 ; 4-byte Folded Reload
	buffer_load_dword v20, off, s[0:3], 0 offset:1564 ; 4-byte Folded Reload
	buffer_load_dword v21, off, s[0:3], 0 offset:1568 ; 4-byte Folded Reload
	buffer_load_dword v22, off, s[0:3], 0 offset:1572 ; 4-byte Folded Reload
	buffer_load_dword v23, off, s[0:3], 0 offset:1576 ; 4-byte Folded Reload
	buffer_load_dword v24, off, s[0:3], 0 offset:1580 ; 4-byte Folded Reload
	buffer_load_dword v25, off, s[0:3], 0 offset:1584 ; 4-byte Folded Reload
	buffer_load_dword v26, off, s[0:3], 0 offset:1588 ; 4-byte Folded Reload
	buffer_load_dword v27, off, s[0:3], 0 offset:1592 ; 4-byte Folded Reload
	buffer_load_dword v28, off, s[0:3], 0 offset:1596 ; 4-byte Folded Reload
	buffer_load_dword v29, off, s[0:3], 0 offset:1600 ; 4-byte Folded Reload
	buffer_load_dword v30, off, s[0:3], 0 offset:1604 ; 4-byte Folded Reload
	buffer_load_dword v31, off, s[0:3], 0 offset:1608 ; 4-byte Folded Reload
	buffer_load_dword v32, off, s[0:3], 0 offset:1612 ; 4-byte Folded Reload
	buffer_load_dword v33, off, s[0:3], 0 offset:1616 ; 4-byte Folded Reload
	buffer_load_dword v34, off, s[0:3], 0 offset:1620 ; 4-byte Folded Reload
	buffer_load_dword v35, off, s[0:3], 0 offset:1624 ; 4-byte Folded Reload
	buffer_load_dword v36, off, s[0:3], 0 offset:1628 ; 4-byte Folded Reload
	buffer_load_dword v37, off, s[0:3], 0 offset:1632 ; 4-byte Folded Reload
	buffer_load_dword v38, off, s[0:3], 0 offset:1636 ; 4-byte Folded Reload
	buffer_load_dword v39, off, s[0:3], 0 offset:1640 ; 4-byte Folded Reload
	buffer_load_dword v40, off, s[0:3], 0 offset:1644 ; 4-byte Folded Reload
	buffer_load_dword v41, off, s[0:3], 0 offset:1648 ; 4-byte Folded Reload
	v_cndmask_b32_e64 v7, v7, v75, s[16:17]
	s_waitcnt vmcnt(18)
	v_mov_b32_e32 v73, v23
	buffer_load_dword v10, off, s[0:3], 0 offset:1396 ; 4-byte Folded Reload
	buffer_load_dword v11, off, s[0:3], 0 offset:1400 ; 4-byte Folded Reload
	buffer_load_dword v12, off, s[0:3], 0 offset:1404 ; 4-byte Folded Reload
	buffer_load_dword v13, off, s[0:3], 0 offset:1408 ; 4-byte Folded Reload
	buffer_load_dword v14, off, s[0:3], 0 offset:1412 ; 4-byte Folded Reload
	buffer_load_dword v15, off, s[0:3], 0 offset:1416 ; 4-byte Folded Reload
	buffer_load_dword v16, off, s[0:3], 0 offset:1420 ; 4-byte Folded Reload
	buffer_load_dword v17, off, s[0:3], 0 offset:1424 ; 4-byte Folded Reload
	buffer_load_dword v18, off, s[0:3], 0 offset:1428 ; 4-byte Folded Reload
	buffer_load_dword v19, off, s[0:3], 0 offset:1432 ; 4-byte Folded Reload
	buffer_load_dword v20, off, s[0:3], 0 offset:1436 ; 4-byte Folded Reload
	buffer_load_dword v21, off, s[0:3], 0 offset:1440 ; 4-byte Folded Reload
	buffer_load_dword v22, off, s[0:3], 0 offset:1444 ; 4-byte Folded Reload
	buffer_load_dword v23, off, s[0:3], 0 offset:1448 ; 4-byte Folded Reload
	buffer_load_dword v24, off, s[0:3], 0 offset:1452 ; 4-byte Folded Reload
	buffer_load_dword v25, off, s[0:3], 0 offset:1456 ; 4-byte Folded Reload
	buffer_load_dword v26, off, s[0:3], 0 offset:1460 ; 4-byte Folded Reload
	buffer_load_dword v27, off, s[0:3], 0 offset:1464 ; 4-byte Folded Reload
	buffer_load_dword v28, off, s[0:3], 0 offset:1468 ; 4-byte Folded Reload
	buffer_load_dword v29, off, s[0:3], 0 offset:1472 ; 4-byte Folded Reload
	buffer_load_dword v30, off, s[0:3], 0 offset:1476 ; 4-byte Folded Reload
	buffer_load_dword v31, off, s[0:3], 0 offset:1480 ; 4-byte Folded Reload
	buffer_load_dword v32, off, s[0:3], 0 offset:1484 ; 4-byte Folded Reload
	buffer_load_dword v33, off, s[0:3], 0 offset:1488 ; 4-byte Folded Reload
	buffer_load_dword v34, off, s[0:3], 0 offset:1492 ; 4-byte Folded Reload
	buffer_load_dword v35, off, s[0:3], 0 offset:1496 ; 4-byte Folded Reload
	buffer_load_dword v36, off, s[0:3], 0 offset:1500 ; 4-byte Folded Reload
	buffer_load_dword v37, off, s[0:3], 0 offset:1504 ; 4-byte Folded Reload
	buffer_load_dword v38, off, s[0:3], 0 offset:1508 ; 4-byte Folded Reload
	buffer_load_dword v39, off, s[0:3], 0 offset:1512 ; 4-byte Folded Reload
	buffer_load_dword v40, off, s[0:3], 0 offset:1516 ; 4-byte Folded Reload
	buffer_load_dword v41, off, s[0:3], 0 offset:1520 ; 4-byte Folded Reload
	;; [unrolled: 35-line block ×7, first 2 shown]
	v_cndmask_b32_e64 v91, v7, v81, s[22:23]
	v_cndmask_b32_e64 v7, v107, v105, s[24:25]
	;; [unrolled: 1-line block ×11, first 2 shown]
	s_waitcnt vmcnt(15)
	v_mov_b32_e32 v78, v34
	v_cndmask_b32_e64 v90, v8, v78, s[22:23]
	v_cndmask_b32_e64 v8, v106, v104, s[24:25]
	;; [unrolled: 1-line block ×9, first 2 shown]
	v_add_f64 v[8:9], -v[90:91], 0
	v_add_f64 v[10:11], v[58:59], -v[90:91]
	v_div_scale_f64 v[20:21], s[42:43], v[10:11], v[10:11], v[8:9]
	v_rcp_f64_e32 v[22:23], v[20:21]
	v_fma_f64 v[24:25], -v[20:21], v[22:23], 1.0
	v_fmac_f64_e32 v[22:23], v[22:23], v[24:25]
	v_fma_f64 v[24:25], -v[20:21], v[22:23], 1.0
	v_fmac_f64_e32 v[22:23], v[22:23], v[24:25]
	v_div_scale_f64 v[24:25], vcc, v[8:9], v[10:11], v[8:9]
	v_mul_f64 v[26:27], v[24:25], v[22:23]
	v_fma_f64 v[20:21], -v[20:21], v[26:27], v[24:25]
	s_nop 1
	v_div_fmas_f64 v[20:21], v[20:21], v[22:23], v[26:27]
	buffer_load_dword v24, off, s[0:3], 0 offset:116 ; 4-byte Folded Reload
	buffer_load_dword v25, off, s[0:3], 0 offset:120 ; 4-byte Folded Reload
	;; [unrolled: 1-line block ×32, first 2 shown]
	v_div_fixup_f64 v[68:69], v[20:21], v[10:11], v[8:9]
	v_add_f64 v[88:89], -v[68:69], 1.0
	s_waitcnt vmcnt(24)
	v_pk_mov_b32 v[66:67], v[30:31], v[30:31] op_sel:[0,1]
	buffer_load_dword v8, off, s[0:3], 0 offset:2676 ; 4-byte Folded Reload
	buffer_load_dword v9, off, s[0:3], 0 offset:2680 ; 4-byte Folded Reload
	buffer_load_dword v10, off, s[0:3], 0 offset:2684 ; 4-byte Folded Reload
	buffer_load_dword v11, off, s[0:3], 0 offset:2688 ; 4-byte Folded Reload
	buffer_load_dword v12, off, s[0:3], 0 offset:2692 ; 4-byte Folded Reload
	buffer_load_dword v13, off, s[0:3], 0 offset:2696 ; 4-byte Folded Reload
	buffer_load_dword v14, off, s[0:3], 0 offset:2700 ; 4-byte Folded Reload
	buffer_load_dword v15, off, s[0:3], 0 offset:2704 ; 4-byte Folded Reload
	buffer_load_dword v16, off, s[0:3], 0 offset:2708 ; 4-byte Folded Reload
	buffer_load_dword v17, off, s[0:3], 0 offset:2712 ; 4-byte Folded Reload
	buffer_load_dword v18, off, s[0:3], 0 offset:2716 ; 4-byte Folded Reload
	buffer_load_dword v19, off, s[0:3], 0 offset:2720 ; 4-byte Folded Reload
	buffer_load_dword v20, off, s[0:3], 0 offset:2724 ; 4-byte Folded Reload
	buffer_load_dword v21, off, s[0:3], 0 offset:2728 ; 4-byte Folded Reload
	buffer_load_dword v22, off, s[0:3], 0 offset:2732 ; 4-byte Folded Reload
	buffer_load_dword v23, off, s[0:3], 0 offset:2736 ; 4-byte Folded Reload
	buffer_load_dword v24, off, s[0:3], 0 offset:2740 ; 4-byte Folded Reload
	buffer_load_dword v25, off, s[0:3], 0 offset:2744 ; 4-byte Folded Reload
	buffer_load_dword v26, off, s[0:3], 0 offset:2748 ; 4-byte Folded Reload
	buffer_load_dword v27, off, s[0:3], 0 offset:2752 ; 4-byte Folded Reload
	buffer_load_dword v28, off, s[0:3], 0 offset:2756 ; 4-byte Folded Reload
	buffer_load_dword v29, off, s[0:3], 0 offset:2760 ; 4-byte Folded Reload
	buffer_load_dword v30, off, s[0:3], 0 offset:2764 ; 4-byte Folded Reload
	buffer_load_dword v31, off, s[0:3], 0 offset:2768 ; 4-byte Folded Reload
	buffer_load_dword v32, off, s[0:3], 0 offset:2772 ; 4-byte Folded Reload
	buffer_load_dword v33, off, s[0:3], 0 offset:2776 ; 4-byte Folded Reload
	buffer_load_dword v34, off, s[0:3], 0 offset:2780 ; 4-byte Folded Reload
	buffer_load_dword v35, off, s[0:3], 0 offset:2784 ; 4-byte Folded Reload
	buffer_load_dword v36, off, s[0:3], 0 offset:2788 ; 4-byte Folded Reload
	buffer_load_dword v37, off, s[0:3], 0 offset:2792 ; 4-byte Folded Reload
	buffer_load_dword v38, off, s[0:3], 0 offset:2796 ; 4-byte Folded Reload
	buffer_load_dword v39, off, s[0:3], 0 offset:2800 ; 4-byte Folded Reload
	v_cndmask_b32_e64 v7, v7, v67, s[28:29]
	v_cndmask_b32_e64 v7, v7, v117, s[30:31]
	s_waitcnt vmcnt(20)
	v_mov_b32_e32 v83, v19
	buffer_load_dword v8, off, s[0:3], 0 offset:2548 ; 4-byte Folded Reload
	buffer_load_dword v9, off, s[0:3], 0 offset:2552 ; 4-byte Folded Reload
	;; [unrolled: 1-line block ×64, first 2 shown]
	s_waitcnt vmcnt(61)
	v_cndmask_b32_e64 v10, v110, v102, s[24:25]
	v_cndmask_b32_e64 v10, v10, v108, s[26:27]
	;; [unrolled: 1-line block ×5, first 2 shown]
	s_waitcnt vmcnt(50)
	v_mov_b32_e32 v79, v21
	s_waitcnt vmcnt(16)
	v_mov_b32_e32 v85, v39
	buffer_load_dword v12, off, s[0:3], 0 offset:3188 ; 4-byte Folded Reload
	buffer_load_dword v13, off, s[0:3], 0 offset:3192 ; 4-byte Folded Reload
	;; [unrolled: 1-line block ×32, first 2 shown]
	v_cndmask_b32_e64 v7, v7, v79, s[36:37]
	v_cndmask_b32_e64 v0, v7, v85, s[38:39]
	s_waitcnt vmcnt(21)
	v_mov_b32_e32 v84, v22
	buffer_load_dword v12, off, s[0:3], 0 offset:3060 ; 4-byte Folded Reload
	buffer_load_dword v13, off, s[0:3], 0 offset:3064 ; 4-byte Folded Reload
	;; [unrolled: 1-line block ×32, first 2 shown]
	v_cndmask_b32_e64 v10, v10, v84, s[34:35]
	s_waitcnt vmcnt(19)
	v_mov_b32_e32 v82, v24
	buffer_load_dword v24, off, s[0:3], 0 offset:2932 ; 4-byte Folded Reload
	buffer_load_dword v25, off, s[0:3], 0 offset:2936 ; 4-byte Folded Reload
	;; [unrolled: 1-line block ×32, first 2 shown]
	v_cndmask_b32_e64 v10, v10, v82, s[36:37]
	s_waitcnt vmcnt(17)
	v_cndmask_b32_e64 v37, v10, v38, s[38:39]
	buffer_load_dword v2, off, s[0:3], 0 offset:2292 ; 4-byte Folded Reload
	buffer_load_dword v3, off, s[0:3], 0 offset:2296 ; 4-byte Folded Reload
	;; [unrolled: 1-line block ×32, first 2 shown]
	s_waitcnt vmcnt(0)
	v_mov_b32_e32 v33, v19
	v_cndmask_b32_e64 v35, v0, v33, s[40:41]
	buffer_load_dword v0, off, s[0:3], 0 offset:2804 ; 4-byte Folded Reload
	buffer_load_dword v1, off, s[0:3], 0 offset:2808 ; 4-byte Folded Reload
	buffer_load_dword v2, off, s[0:3], 0 offset:2812 ; 4-byte Folded Reload
	buffer_load_dword v3, off, s[0:3], 0 offset:2816 ; 4-byte Folded Reload
	buffer_load_dword v4, off, s[0:3], 0 offset:2820 ; 4-byte Folded Reload
	buffer_load_dword v5, off, s[0:3], 0 offset:2824 ; 4-byte Folded Reload
	buffer_load_dword v6, off, s[0:3], 0 offset:2828 ; 4-byte Folded Reload
	buffer_load_dword v7, off, s[0:3], 0 offset:2832 ; 4-byte Folded Reload
	buffer_load_dword v8, off, s[0:3], 0 offset:2836 ; 4-byte Folded Reload
	buffer_load_dword v9, off, s[0:3], 0 offset:2840 ; 4-byte Folded Reload
	buffer_load_dword v10, off, s[0:3], 0 offset:2844 ; 4-byte Folded Reload
	buffer_load_dword v11, off, s[0:3], 0 offset:2848 ; 4-byte Folded Reload
	buffer_load_dword v12, off, s[0:3], 0 offset:2852 ; 4-byte Folded Reload
	buffer_load_dword v13, off, s[0:3], 0 offset:2856 ; 4-byte Folded Reload
	buffer_load_dword v14, off, s[0:3], 0 offset:2860 ; 4-byte Folded Reload
	buffer_load_dword v15, off, s[0:3], 0 offset:2864 ; 4-byte Folded Reload
	buffer_load_dword v16, off, s[0:3], 0 offset:2868 ; 4-byte Folded Reload
	buffer_load_dword v17, off, s[0:3], 0 offset:2872 ; 4-byte Folded Reload
	buffer_load_dword v18, off, s[0:3], 0 offset:2876 ; 4-byte Folded Reload
	buffer_load_dword v19, off, s[0:3], 0 offset:2880 ; 4-byte Folded Reload
	buffer_load_dword v20, off, s[0:3], 0 offset:2884 ; 4-byte Folded Reload
	buffer_load_dword v21, off, s[0:3], 0 offset:2888 ; 4-byte Folded Reload
	buffer_load_dword v22, off, s[0:3], 0 offset:2892 ; 4-byte Folded Reload
	buffer_load_dword v23, off, s[0:3], 0 offset:2896 ; 4-byte Folded Reload
	buffer_load_dword v24, off, s[0:3], 0 offset:2900 ; 4-byte Folded Reload
	buffer_load_dword v25, off, s[0:3], 0 offset:2904 ; 4-byte Folded Reload
	buffer_load_dword v26, off, s[0:3], 0 offset:2908 ; 4-byte Folded Reload
	buffer_load_dword v27, off, s[0:3], 0 offset:2912 ; 4-byte Folded Reload
	buffer_load_dword v28, off, s[0:3], 0 offset:2916 ; 4-byte Folded Reload
	buffer_load_dword v29, off, s[0:3], 0 offset:2920 ; 4-byte Folded Reload
	buffer_load_dword v30, off, s[0:3], 0 offset:2924 ; 4-byte Folded Reload
	buffer_load_dword v31, off, s[0:3], 0 offset:2928 ; 4-byte Folded Reload
	buffer_load_dword v128, off, s[0:3], 0 offset:100
	s_waitcnt vmcnt(25)
	v_cndmask_b32_e64 v7, v111, v103, s[8:9]
	s_waitcnt vmcnt(22)
	v_cndmask_b32_e64 v10, v110, v102, s[8:9]
	v_cndmask_b32_e64 v7, v7, v109, s[10:11]
	v_cndmask_b32_e64 v10, v10, v108, s[10:11]
	v_cndmask_b32_e64 v7, v7, v67, s[12:13]
	v_cndmask_b32_e64 v10, v10, v66, s[12:13]
	v_cndmask_b32_e64 v7, v7, v117, s[14:15]
	v_cndmask_b32_e64 v10, v10, v116, s[14:15]
	v_cndmask_b32_e64 v7, v7, v83, s[16:17]
	v_cndmask_b32_e64 v10, v10, v84, s[16:17]
	v_cndmask_b32_e64 v7, v7, v79, s[18:19]
	v_cndmask_b32_e64 v10, v10, v82, s[18:19]
	v_cndmask_b32_e64 v7, v7, v85, s[20:21]
	v_cndmask_b32_e64 v10, v10, v38, s[20:21]
	s_waitcnt vmcnt(21)
	v_cndmask_b32_e64 v11, v7, v33, s[22:23]
	v_cndmask_b32_e64 v7, v153, v137, s[24:25]
	;; [unrolled: 1-line block ×3, first 2 shown]
	s_waitcnt vmcnt(16)
	v_cndmask_b32_e64 v10, v10, v16, s[22:23]
	v_cndmask_b32_e64 v34, v37, v16, s[40:41]
	v_mul_f64 v[70:71], v[10:11], v[88:89]
	v_fmac_f64_e32 v[70:71], v[34:35], v[68:69]
	s_waitcnt vmcnt(0)
	v_cmp_eq_u32_e64 s[46:47], 7, v128
	v_cmp_eq_u32_e64 s[42:43], 3, v128
	v_cndmask_b32_e64 v140, v85, v71, s[46:47]
	v_cndmask_b32_e64 v85, v66, v70, s[42:43]
	;; [unrolled: 1-line block ×3, first 2 shown]
	v_mul_f64 v[66:67], v[90:91], v[88:89]
	v_cmp_eq_u32_e64 s[44:45], 8, v128
	v_fmac_f64_e32 v[66:67], v[58:59], v[68:69]
	v_cndmask_b32_e64 v131, v38, v70, s[46:47]
	v_cndmask_b32_e64 v141, v33, v71, s[44:45]
	;; [unrolled: 1-line block ×4, first 2 shown]
	buffer_load_dword v28, off, s[0:3], s33 ; 4-byte Folded Reload
	buffer_load_dword v29, off, s[0:3], s33 offset:4 ; 4-byte Folded Reload
	buffer_load_dword v30, off, s[0:3], s33 offset:8 ; 4-byte Folded Reload
	;; [unrolled: 1-line block ×31, first 2 shown]
	v_cmp_eq_u32_e64 s[48:49], 6, v128
	v_cndmask_b32_e64 v130, v16, v70, s[44:45]
	v_cndmask_b32_e64 v99, v72, v66, s[48:49]
	;; [unrolled: 1-line block ×3, first 2 shown]
	v_cmp_eq_u32_e64 s[50:51], 5, v128
	v_cndmask_b32_e64 v115, v75, v67, s[50:51]
	v_cndmask_b32_e64 v120, v81, v67, s[44:45]
	;; [unrolled: 1-line block ×3, first 2 shown]
	v_cmp_eq_u32_e32 vcc, 4, v128
	v_cndmask_b32_e64 v113, v60, v66, s[46:47]
	v_cndmask_b32_e64 v119, v61, v67, s[46:47]
	v_cndmask_b32_e32 v121, v62, v66, vcc
	v_cndmask_b32_e32 v123, v63, v67, vcc
	v_cndmask_b32_e64 v98, v74, v66, s[50:51]
	v_cndmask_b32_e64 v132, v82, v70, s[48:49]
	;; [unrolled: 1-line block ×5, first 2 shown]
	v_cndmask_b32_e32 v84, v117, v71, vcc
	v_cndmask_b32_e32 v79, v116, v70, vcc
	s_waitcnt vmcnt(24)
	v_pk_mov_b32 v[72:73], v[34:35], v[34:35] op_sel:[0,1]
	buffer_load_dword v12, off, s[0:3], 0 offset:756 ; 4-byte Folded Reload
	buffer_load_dword v13, off, s[0:3], 0 offset:760 ; 4-byte Folded Reload
	;; [unrolled: 1-line block ×32, first 2 shown]
	v_cndmask_b32_e64 v7, v7, v73, s[28:29]
	v_cndmask_b32_e64 v7, v7, v77, s[30:31]
	s_waitcnt vmcnt(20)
	v_mov_b32_e32 v75, v23
	buffer_load_dword v12, off, s[0:3], 0 offset:628 ; 4-byte Folded Reload
	buffer_load_dword v13, off, s[0:3], 0 offset:632 ; 4-byte Folded Reload
	;; [unrolled: 1-line block ×32, first 2 shown]
	v_cndmask_b32_e64 v7, v7, v75, s[34:35]
	s_waitcnt vmcnt(18)
	v_mov_b32_e32 v81, v25
	buffer_load_dword v12, off, s[0:3], 0 offset:500 ; 4-byte Folded Reload
	buffer_load_dword v13, off, s[0:3], 0 offset:504 ; 4-byte Folded Reload
	;; [unrolled: 1-line block ×32, first 2 shown]
	s_waitcnt vmcnt(31)
	v_cndmask_b32_e64 v12, v152, v136, s[24:25]
	v_cndmask_b32_e64 v12, v12, v158, s[26:27]
	;; [unrolled: 1-line block ×6, first 2 shown]
	s_waitcnt vmcnt(16)
	v_mov_b32_e32 v83, v27
	buffer_load_dword v14, off, s[0:3], 0 offset:1140 ; 4-byte Folded Reload
	buffer_load_dword v15, off, s[0:3], 0 offset:1144 ; 4-byte Folded Reload
	;; [unrolled: 1-line block ×64, first 2 shown]
	v_cndmask_b32_e64 v7, v7, v83, s[38:39]
	s_waitcnt vmcnt(51)
	v_mov_b32_e32 v74, v26
	v_cndmask_b32_e64 v12, v12, v74, s[36:37]
	s_waitcnt vmcnt(17)
	v_cndmask_b32_e64 v44, v12, v46, s[38:39]
	buffer_load_dword v12, off, s[0:3], 0 offset:372 ; 4-byte Folded Reload
	buffer_load_dword v13, off, s[0:3], 0 offset:376 ; 4-byte Folded Reload
	;; [unrolled: 1-line block ×32, first 2 shown]
	s_waitcnt vmcnt(10)
	v_mov_b32_e32 v33, v29
	s_waitcnt vmcnt(4)
	v_cndmask_b32_e64 v39, v7, v33, s[40:41]
	buffer_load_dword v0, off, s[0:3], 0 offset:884 ; 4-byte Folded Reload
	buffer_load_dword v1, off, s[0:3], 0 offset:888 ; 4-byte Folded Reload
	;; [unrolled: 1-line block ×32, first 2 shown]
	s_waitcnt vmcnt(24)
	v_cndmask_b32_e64 v7, v153, v137, s[8:9]
	s_waitcnt vmcnt(19)
	v_cndmask_b32_e64 v12, v152, v136, s[8:9]
	v_cndmask_b32_e64 v7, v7, v159, s[10:11]
	;; [unrolled: 1-line block ×18, first 2 shown]
	s_waitcnt vmcnt(15)
	v_cndmask_b32_e64 v40, v12, v16, s[22:23]
	v_cndmask_b32_e64 v38, v44, v16, s[40:41]
	v_mul_f64 v[52:53], v[40:41], v[88:89]
	v_fmac_f64_e32 v[52:53], v[38:39], v[68:69]
	v_cndmask_b32_e64 v148, v16, v52, s[44:45]
	v_cndmask_b32_e64 v151, v33, v53, s[44:45]
	buffer_load_dword v8, off, s[0:3], 0 offset:3828 ; 4-byte Folded Reload
	buffer_load_dword v9, off, s[0:3], 0 offset:3832 ; 4-byte Folded Reload
	;; [unrolled: 1-line block ×32, first 2 shown]
	v_cndmask_b32_e64 v156, v73, v53, s[42:43]
	v_cndmask_b32_e64 v147, v46, v52, s[46:47]
	;; [unrolled: 1-line block ×3, first 2 shown]
	v_cndmask_b32_e32 v54, v76, v52, vcc
	v_cndmask_b32_e32 v55, v77, v53, vcc
	v_cndmask_b32_e64 v154, v83, v53, s[46:47]
	v_cndmask_b32_e64 v146, v74, v52, s[48:49]
	;; [unrolled: 1-line block ×5, first 2 shown]
	s_waitcnt vmcnt(20)
	v_mov_b32_e32 v73, v19
	buffer_load_dword v8, off, s[0:3], 0 offset:3700 ; 4-byte Folded Reload
	buffer_load_dword v9, off, s[0:3], 0 offset:3704 ; 4-byte Folded Reload
	buffer_load_dword v10, off, s[0:3], 0 offset:3708 ; 4-byte Folded Reload
	buffer_load_dword v11, off, s[0:3], 0 offset:3712 ; 4-byte Folded Reload
	buffer_load_dword v12, off, s[0:3], 0 offset:3716 ; 4-byte Folded Reload
	buffer_load_dword v13, off, s[0:3], 0 offset:3720 ; 4-byte Folded Reload
	buffer_load_dword v14, off, s[0:3], 0 offset:3724 ; 4-byte Folded Reload
	buffer_load_dword v15, off, s[0:3], 0 offset:3728 ; 4-byte Folded Reload
	buffer_load_dword v16, off, s[0:3], 0 offset:3732 ; 4-byte Folded Reload
	buffer_load_dword v17, off, s[0:3], 0 offset:3736 ; 4-byte Folded Reload
	buffer_load_dword v18, off, s[0:3], 0 offset:3740 ; 4-byte Folded Reload
	buffer_load_dword v19, off, s[0:3], 0 offset:3744 ; 4-byte Folded Reload
	buffer_load_dword v20, off, s[0:3], 0 offset:3748 ; 4-byte Folded Reload
	buffer_load_dword v21, off, s[0:3], 0 offset:3752 ; 4-byte Folded Reload
	buffer_load_dword v22, off, s[0:3], 0 offset:3756 ; 4-byte Folded Reload
	buffer_load_dword v23, off, s[0:3], 0 offset:3760 ; 4-byte Folded Reload
	buffer_load_dword v24, off, s[0:3], 0 offset:3764 ; 4-byte Folded Reload
	buffer_load_dword v25, off, s[0:3], 0 offset:3768 ; 4-byte Folded Reload
	buffer_load_dword v26, off, s[0:3], 0 offset:3772 ; 4-byte Folded Reload
	buffer_load_dword v27, off, s[0:3], 0 offset:3776 ; 4-byte Folded Reload
	buffer_load_dword v28, off, s[0:3], 0 offset:3780 ; 4-byte Folded Reload
	buffer_load_dword v29, off, s[0:3], 0 offset:3784 ; 4-byte Folded Reload
	buffer_load_dword v30, off, s[0:3], 0 offset:3788 ; 4-byte Folded Reload
	buffer_load_dword v31, off, s[0:3], 0 offset:3792 ; 4-byte Folded Reload
	buffer_load_dword v32, off, s[0:3], 0 offset:3796 ; 4-byte Folded Reload
	buffer_load_dword v33, off, s[0:3], 0 offset:3800 ; 4-byte Folded Reload
	buffer_load_dword v34, off, s[0:3], 0 offset:3804 ; 4-byte Folded Reload
	buffer_load_dword v35, off, s[0:3], 0 offset:3808 ; 4-byte Folded Reload
	buffer_load_dword v36, off, s[0:3], 0 offset:3812 ; 4-byte Folded Reload
	buffer_load_dword v37, off, s[0:3], 0 offset:3816 ; 4-byte Folded Reload
	buffer_load_dword v38, off, s[0:3], 0 offset:3820 ; 4-byte Folded Reload
	buffer_load_dword v39, off, s[0:3], 0 offset:3824 ; 4-byte Folded Reload
	s_waitcnt vmcnt(27)
	v_cndmask_b32_e64 v12, v162, v160, s[8:9]
	s_mov_b32 s8, 0x41d00
	v_cndmask_b32_e64 v12, v12, v164, s[10:11]
	v_cndmask_b32_e64 v12, v12, v100, s[12:13]
	;; [unrolled: 1-line block ×4, first 2 shown]
	v_cmp_eq_u32_e64 s[10:11], 2, v80
	v_cmp_eq_u32_e64 s[12:13], 3, v80
	;; [unrolled: 1-line block ×3, first 2 shown]
	s_waitcnt vmcnt(18)
	v_mov_b32_e32 v61, v21
	buffer_load_dword v20, off, s[0:3], 0 offset:3572 ; 4-byte Folded Reload
	buffer_load_dword v21, off, s[0:3], 0 offset:3576 ; 4-byte Folded Reload
	;; [unrolled: 1-line block ×32, first 2 shown]
	v_cndmask_b32_e64 v7, v7, v61, s[18:19]
	s_waitcnt vmcnt(16)
	v_mov_b32_e32 v75, v35
	buffer_load_dword v14, off, s[0:3], s8  ; 4-byte Folded Reload
	buffer_load_dword v15, off, s[0:3], s8 offset:4 ; 4-byte Folded Reload
	buffer_load_dword v16, off, s[0:3], s8 offset:8 ; 4-byte Folded Reload
	;; [unrolled: 1-line block ×31, first 2 shown]
	s_mov_b32 s8, 0x3fd00
	v_cndmask_b32_e64 v56, v7, v75, s[20:21]
	s_waitcnt vmcnt(21)
	v_mov_b32_e32 v62, v24
	buffer_load_dword v14, off, s[0:3], s8  ; 4-byte Folded Reload
	buffer_load_dword v15, off, s[0:3], s8 offset:4 ; 4-byte Folded Reload
	buffer_load_dword v16, off, s[0:3], s8 offset:8 ; 4-byte Folded Reload
	;; [unrolled: 1-line block ×31, first 2 shown]
	v_cndmask_b32_e64 v12, v12, v62, s[16:17]
	s_mov_b32 s8, 0x43d00
	v_cmp_eq_u32_e64 s[16:17], 5, v80
	s_waitcnt vmcnt(19)
	v_mov_b32_e32 v60, v26
	buffer_load_dword v20, off, s[0:3], 0 offset:3956 ; 4-byte Folded Reload
	buffer_load_dword v21, off, s[0:3], 0 offset:3960 ; 4-byte Folded Reload
	;; [unrolled: 1-line block ×32, first 2 shown]
	v_cndmask_b32_e64 v12, v12, v60, s[18:19]
	v_cmp_eq_u32_e64 s[18:19], 6, v80
	s_waitcnt vmcnt(17)
	v_cndmask_b32_e64 v33, v12, v34, s[20:21]
	buffer_load_dword v0, off, s[0:3], 0 offset:3316 ; 4-byte Folded Reload
	buffer_load_dword v1, off, s[0:3], 0 offset:3320 ; 4-byte Folded Reload
	;; [unrolled: 1-line block ×32, first 2 shown]
	v_cmp_eq_u32_e64 s[20:21], 7, v80
	s_waitcnt vmcnt(14)
	v_mov_b32_e32 v37, v17
	buffer_load_dword v0, off, s[0:3], s8   ; 4-byte Folded Reload
	buffer_load_dword v1, off, s[0:3], s8 offset:4 ; 4-byte Folded Reload
	buffer_load_dword v2, off, s[0:3], s8 offset:8 ; 4-byte Folded Reload
	;; [unrolled: 1-line block ×31, first 2 shown]
	s_waitcnt vmcnt(24)
	v_cndmask_b32_e64 v7, v163, v161, s[24:25]
	v_cndmask_b32_e64 v7, v7, v165, s[26:27]
	;; [unrolled: 1-line block ×3, first 2 shown]
	s_waitcnt vmcnt(19)
	v_cndmask_b32_e64 v12, v162, v160, s[24:25]
	v_cndmask_b32_e64 v7, v7, v135, s[30:31]
	;; [unrolled: 1-line block ×11, first 2 shown]
	v_mov_b32_e32 v7, 16
	v_cndmask_b32_e64 v12, v12, v34, s[38:39]
	v_lshl_add_u32 v8, v128, 2, v7
	v_cndmask_b32_e64 v59, v56, v37, s[22:23]
	v_cmp_eq_u32_e64 s[8:9], 2, v128
	v_cndmask_b32_e64 v87, v108, v70, s[8:9]
	v_cndmask_b32_e64 v90, v109, v71, s[8:9]
	;; [unrolled: 1-line block ×4, first 2 shown]
	v_cmp_eq_u32_e64 s[24:25], 1, v127
	v_cmp_eq_u32_e64 s[26:27], 2, v127
	;; [unrolled: 1-line block ×7, first 2 shown]
	s_waitcnt vmcnt(15)
	v_cndmask_b32_e64 v56, v12, v16, s[40:41]
	buffer_load_dword v12, v8, s[0:3], 0 offen offset:40
	v_cndmask_b32_e64 v58, v33, v16, s[22:23]
	v_mul_f64 v[76:77], v[58:59], v[88:89]
	v_fmac_f64_e32 v[76:77], v[56:57], v[68:69]
	v_cndmask_b32_e64 v59, v16, v76, s[44:45]
	v_cndmask_b32_e64 v58, v34, v76, s[46:47]
	;; [unrolled: 1-line block ×5, first 2 shown]
	v_cmp_eq_u32_e64 s[44:45], 1, v128
	v_cmp_eq_u32_e64 s[46:47], 0, v128
	v_cndmask_b32_e64 v91, v103, v71, s[44:45]
	v_cndmask_b32_e64 v92, v111, v71, s[46:47]
	;; [unrolled: 1-line block ×8, first 2 shown]
	v_cmp_eq_u32_e64 s[8:9], 1, v80
	v_cndmask_b32_e64 v0, v95, v94, s[8:9]
	v_cndmask_b32_e64 v6, v95, v94, s[24:25]
	;; [unrolled: 1-line block ×15, first 2 shown]
	v_cmp_eq_u32_e64 s[22:23], 8, v80
	v_cndmask_b32_e64 v6, v6, v119, s[38:39]
	v_cmp_eq_u32_e64 s[40:41], 8, v127
	v_cndmask_b32_e64 v57, v60, v76, s[48:49]
	v_cndmask_b32_e64 v60, v73, v77, s[50:51]
	v_cndmask_b32_e64 v35, v137, v53, s[44:45]
	v_cndmask_b32_e64 v73, v153, v53, s[46:47]
	v_cndmask_b32_e64 v9, v0, v120, s[22:23]
	v_cndmask_b32_e64 v0, v72, v74, s[8:9]
	v_cndmask_b32_e64 v53, v6, v120, s[40:41]
	v_cndmask_b32_e64 v6, v72, v74, s[24:25]
	v_cndmask_b32_e64 v0, v0, v75, s[10:11]
	v_cndmask_b32_e64 v6, v6, v75, s[26:27]
	v_cndmask_b32_e64 v0, v0, v122, s[12:13]
	v_cndmask_b32_e64 v6, v6, v122, s[28:29]
	v_cndmask_b32_e64 v0, v0, v121, s[14:15]
	v_cndmask_b32_e64 v6, v6, v121, s[30:31]
	v_cndmask_b32_e64 v0, v0, v98, s[16:17]
	v_cndmask_b32_e64 v6, v6, v98, s[34:35]
	v_cndmask_b32_e64 v0, v0, v99, s[18:19]
	v_cndmask_b32_e64 v6, v6, v99, s[36:37]
	v_cndmask_b32_e64 v0, v0, v113, s[20:21]
	v_cndmask_b32_e64 v6, v6, v113, s[38:39]
	v_cndmask_b32_e64 v34, v136, v52, s[44:45]
	v_cndmask_b32_e64 v69, v152, v52, s[46:47]
	v_cndmask_b32_e64 v8, v0, v114, s[22:23]
	v_cndmask_b32_e64 v52, v6, v114, s[40:41]
	v_add_f64 v[0:1], -v[8:9], 0
	v_cndmask_b32_e64 v65, v100, v76, s[42:43]
	v_cndmask_b32_e64 v68, v101, v77, s[42:43]
	;; [unrolled: 1-line block ×5, first 2 shown]
	v_cndmask_b32_e32 v66, v134, v76, vcc
	v_cndmask_b32_e64 v15, v160, v76, s[44:45]
	v_cndmask_b32_e64 v14, v162, v76, s[46:47]
	v_cndmask_b32_e32 v70, v135, v77, vcc
	v_cndmask_b32_e64 v96, v161, v77, s[44:45]
	v_cndmask_b32_e64 v97, v163, v77, s[46:47]
	s_waitcnt vmcnt(0)
	v_lshl_add_u32 v7, v12, 2, v7
	buffer_load_dword v82, v7, s[0:3], 0 offen offset:40
	v_add_f64 v[6:7], v[52:53], -v[8:9]
	v_div_scale_f64 v[10:11], s[42:43], v[6:7], v[6:7], v[0:1]
	v_rcp_f64_e32 v[80:81], v[10:11]
	v_cmp_eq_u32_e64 s[42:43], 3, v12
	v_cmp_eq_u32_e64 s[44:45], 2, v12
	;; [unrolled: 1-line block ×3, first 2 shown]
	v_fma_f64 v[76:77], -v[10:11], v[80:81], 1.0
	v_fmac_f64_e32 v[80:81], v[80:81], v[76:77]
	v_fma_f64 v[76:77], -v[10:11], v[80:81], 1.0
	v_fmac_f64_e32 v[80:81], v[80:81], v[76:77]
	v_div_scale_f64 v[76:77], vcc, v[0:1], v[6:7], v[0:1]
	v_cmp_eq_u32_e64 s[48:49], 0, v12
	s_waitcnt vmcnt(0)
	buffer_store_dword v82, off, s[0:3], 0 offset:100
	v_mul_f64 v[82:83], v[76:77], v[80:81]
	v_fma_f64 v[10:11], -v[10:11], v[82:83], v[76:77]
	v_div_fmas_f64 v[10:11], v[10:11], v[80:81], v[82:83]
	v_div_fixup_f64 v[0:1], v[10:11], v[6:7], v[0:1]
	v_cndmask_b32_e64 v6, v92, v91, s[24:25]
	v_cndmask_b32_e64 v6, v6, v90, s[26:27]
	;; [unrolled: 1-line block ×32, first 2 shown]
	v_add_f64 v[10:11], -v[0:1], 1.0
	v_mul_f64 v[6:7], v[6:7], v[10:11]
	v_fmac_f64_e32 v[6:7], v[76:77], v[0:1]
	v_cmp_eq_u32_e32 vcc, 4, v12
	v_cndmask_b32_e64 v77, v86, v7, s[42:43]
	v_cndmask_b32_e64 v76, v85, v6, s[42:43]
	v_cndmask_b32_e32 v117, v84, v7, vcc
	v_cndmask_b32_e32 v116, v79, v6, vcc
	buffer_store_dword v70, off, s[0:3], 0 offset:116 ; 4-byte Folded Spill
	s_nop 0
	buffer_store_dword v71, off, s[0:3], 0 offset:120 ; 4-byte Folded Spill
	buffer_store_dword v72, off, s[0:3], 0 offset:124 ; 4-byte Folded Spill
	;; [unrolled: 1-line block ×31, first 2 shown]
	v_mul_f64 v[8:9], v[8:9], v[10:11]
	v_fmac_f64_e32 v[8:9], v[52:53], v[0:1]
	v_cndmask_b32_e32 v29, v123, v9, vcc
	v_cndmask_b32_e32 v28, v121, v8, vcc
	v_cndmask_b32_e64 v52, v73, v35, s[24:25]
	v_cndmask_b32_e64 v76, v73, v35, s[8:9]
	;; [unrolled: 1-line block ×18, first 2 shown]
	buffer_store_dword v20, off, s[0:3], 0 offset:244 ; 4-byte Folded Spill
	s_nop 0
	buffer_store_dword v21, off, s[0:3], 0 offset:248 ; 4-byte Folded Spill
	buffer_store_dword v22, off, s[0:3], 0 offset:252 ; 4-byte Folded Spill
	;; [unrolled: 1-line block ×31, first 2 shown]
	v_cndmask_b32_e64 v76, v76, v71, s[10:11]
	v_cndmask_b32_e64 v52, v52, v71, s[26:27]
	;; [unrolled: 1-line block ×14, first 2 shown]
	v_mul_f64 v[80:81], v[76:77], v[10:11]
	v_cndmask_b32_e64 v76, v97, v96, s[8:9]
	v_fmac_f64_e32 v[80:81], v[52:53], v[0:1]
	v_cndmask_b32_e64 v52, v97, v96, s[24:25]
	v_cndmask_b32_e64 v76, v76, v67, s[10:11]
	;; [unrolled: 1-line block ×31, first 2 shown]
	v_mul_f64 v[10:11], v[76:77], v[10:11]
	v_cndmask_b32_e64 v43, v156, v81, s[42:43]
	v_cndmask_b32_e64 v42, v155, v80, s[42:43]
	s_mov_b32 s8, 0x45f00
	v_fmac_f64_e32 v[10:11], v[52:53], v[0:1]
	v_cndmask_b32_e32 v77, v55, v81, vcc
	v_cndmask_b32_e32 v76, v54, v80, vcc
	buffer_store_dword v36, off, s[0:3], s8 ; 4-byte Folded Spill
	s_nop 0
	buffer_store_dword v37, off, s[0:3], s8 offset:4 ; 4-byte Folded Spill
	buffer_store_dword v38, off, s[0:3], s8 offset:8 ; 4-byte Folded Spill
	;; [unrolled: 1-line block ×31, first 2 shown]
	v_cmp_eq_u32_e64 s[12:13], 8, v12
	v_cndmask_b32_e64 v29, v124, v9, s[42:43]
	v_cndmask_b32_e64 v28, v122, v8, s[42:43]
	;; [unrolled: 1-line block ×15, first 2 shown]
	v_cndmask_b32_e32 v135, v70, v11, vcc
	v_cndmask_b32_e64 v101, v68, v11, s[42:43]
	v_cndmask_b32_e64 v161, v96, v11, s[46:47]
	v_cndmask_b32_e64 v160, v15, v10, s[46:47]
	v_cndmask_b32_e64 v163, v97, v11, s[48:49]
	v_cndmask_b32_e64 v162, v14, v10, s[48:49]
	v_cmp_eq_u32_e64 s[8:9], 6, v12
	v_cmp_eq_u32_e64 s[10:11], 5, v12
	v_cndmask_b32_e64 v137, v35, v81, s[46:47]
	v_cndmask_b32_e64 v136, v34, v80, s[46:47]
	;; [unrolled: 1-line block ×7, first 2 shown]
	v_cndmask_b32_e32 v134, v66, v10, vcc
	v_cndmask_b32_e64 v100, v65, v10, s[42:43]
	v_cndmask_b32_e64 v165, v67, v11, s[44:45]
	;; [unrolled: 1-line block ×3, first 2 shown]
	v_cmp_eq_u32_e32 vcc, 7, v12
	buffer_store_dword v0, off, s[0:3], 0 offset:2292 ; 4-byte Folded Spill
	s_nop 0
	buffer_store_dword v1, off, s[0:3], 0 offset:2296 ; 4-byte Folded Spill
	buffer_store_dword v2, off, s[0:3], 0 offset:2300 ; 4-byte Folded Spill
	buffer_store_dword v3, off, s[0:3], 0 offset:2304 ; 4-byte Folded Spill
	buffer_store_dword v4, off, s[0:3], 0 offset:2308 ; 4-byte Folded Spill
	buffer_store_dword v5, off, s[0:3], 0 offset:2312 ; 4-byte Folded Spill
	buffer_store_dword v6, off, s[0:3], 0 offset:2316 ; 4-byte Folded Spill
	buffer_store_dword v7, off, s[0:3], 0 offset:2320 ; 4-byte Folded Spill
	buffer_store_dword v8, off, s[0:3], 0 offset:2324 ; 4-byte Folded Spill
	buffer_store_dword v9, off, s[0:3], 0 offset:2328 ; 4-byte Folded Spill
	buffer_store_dword v10, off, s[0:3], 0 offset:2332 ; 4-byte Folded Spill
	buffer_store_dword v11, off, s[0:3], 0 offset:2336 ; 4-byte Folded Spill
	buffer_store_dword v12, off, s[0:3], 0 offset:2340 ; 4-byte Folded Spill
	buffer_store_dword v13, off, s[0:3], 0 offset:2344 ; 4-byte Folded Spill
	buffer_store_dword v14, off, s[0:3], 0 offset:2348 ; 4-byte Folded Spill
	buffer_store_dword v15, off, s[0:3], 0 offset:2352 ; 4-byte Folded Spill
	buffer_store_dword v16, off, s[0:3], 0 offset:2356 ; 4-byte Folded Spill
	buffer_store_dword v17, off, s[0:3], 0 offset:2360 ; 4-byte Folded Spill
	buffer_store_dword v18, off, s[0:3], 0 offset:2364 ; 4-byte Folded Spill
	buffer_store_dword v19, off, s[0:3], 0 offset:2368 ; 4-byte Folded Spill
	buffer_store_dword v20, off, s[0:3], 0 offset:2372 ; 4-byte Folded Spill
	buffer_store_dword v21, off, s[0:3], 0 offset:2376 ; 4-byte Folded Spill
	buffer_store_dword v22, off, s[0:3], 0 offset:2380 ; 4-byte Folded Spill
	buffer_store_dword v23, off, s[0:3], 0 offset:2384 ; 4-byte Folded Spill
	buffer_store_dword v24, off, s[0:3], 0 offset:2388 ; 4-byte Folded Spill
	buffer_store_dword v25, off, s[0:3], 0 offset:2392 ; 4-byte Folded Spill
	buffer_store_dword v26, off, s[0:3], 0 offset:2396 ; 4-byte Folded Spill
	buffer_store_dword v27, off, s[0:3], 0 offset:2400 ; 4-byte Folded Spill
	buffer_store_dword v28, off, s[0:3], 0 offset:2404 ; 4-byte Folded Spill
	buffer_store_dword v29, off, s[0:3], 0 offset:2408 ; 4-byte Folded Spill
	buffer_store_dword v30, off, s[0:3], 0 offset:2412 ; 4-byte Folded Spill
	buffer_store_dword v31, off, s[0:3], 0 offset:2416 ; 4-byte Folded Spill
	v_cndmask_b32_e64 v16, v130, v6, s[12:13]
	buffer_store_dword v0, off, s[0:3], 0 offset:2804 ; 4-byte Folded Spill
	s_nop 0
	buffer_store_dword v1, off, s[0:3], 0 offset:2808 ; 4-byte Folded Spill
	buffer_store_dword v2, off, s[0:3], 0 offset:2812 ; 4-byte Folded Spill
	;; [unrolled: 1-line block ×31, first 2 shown]
	v_cndmask_b32_e32 v15, v140, v7, vcc
	buffer_store_dword v0, off, s[0:3], 0 offset:2420 ; 4-byte Folded Spill
	s_nop 0
	buffer_store_dword v1, off, s[0:3], 0 offset:2424 ; 4-byte Folded Spill
	buffer_store_dword v2, off, s[0:3], 0 offset:2428 ; 4-byte Folded Spill
	;; [unrolled: 1-line block ×31, first 2 shown]
	v_cndmask_b32_e32 v14, v131, v6, vcc
	buffer_store_dword v0, off, s[0:3], 0 offset:2932 ; 4-byte Folded Spill
	s_nop 0
	buffer_store_dword v1, off, s[0:3], 0 offset:2936 ; 4-byte Folded Spill
	buffer_store_dword v2, off, s[0:3], 0 offset:2940 ; 4-byte Folded Spill
	buffer_store_dword v3, off, s[0:3], 0 offset:2944 ; 4-byte Folded Spill
	buffer_store_dword v4, off, s[0:3], 0 offset:2948 ; 4-byte Folded Spill
	buffer_store_dword v5, off, s[0:3], 0 offset:2952 ; 4-byte Folded Spill
	buffer_store_dword v6, off, s[0:3], 0 offset:2956 ; 4-byte Folded Spill
	buffer_store_dword v7, off, s[0:3], 0 offset:2960 ; 4-byte Folded Spill
	buffer_store_dword v8, off, s[0:3], 0 offset:2964 ; 4-byte Folded Spill
	buffer_store_dword v9, off, s[0:3], 0 offset:2968 ; 4-byte Folded Spill
	buffer_store_dword v10, off, s[0:3], 0 offset:2972 ; 4-byte Folded Spill
	buffer_store_dword v11, off, s[0:3], 0 offset:2976 ; 4-byte Folded Spill
	buffer_store_dword v12, off, s[0:3], 0 offset:2980 ; 4-byte Folded Spill
	buffer_store_dword v13, off, s[0:3], 0 offset:2984 ; 4-byte Folded Spill
	buffer_store_dword v14, off, s[0:3], 0 offset:2988 ; 4-byte Folded Spill
	buffer_store_dword v15, off, s[0:3], 0 offset:2992 ; 4-byte Folded Spill
	buffer_store_dword v16, off, s[0:3], 0 offset:2996 ; 4-byte Folded Spill
	buffer_store_dword v17, off, s[0:3], 0 offset:3000 ; 4-byte Folded Spill
	buffer_store_dword v18, off, s[0:3], 0 offset:3004 ; 4-byte Folded Spill
	buffer_store_dword v19, off, s[0:3], 0 offset:3008 ; 4-byte Folded Spill
	buffer_store_dword v20, off, s[0:3], 0 offset:3012 ; 4-byte Folded Spill
	buffer_store_dword v21, off, s[0:3], 0 offset:3016 ; 4-byte Folded Spill
	buffer_store_dword v22, off, s[0:3], 0 offset:3020 ; 4-byte Folded Spill
	buffer_store_dword v23, off, s[0:3], 0 offset:3024 ; 4-byte Folded Spill
	buffer_store_dword v24, off, s[0:3], 0 offset:3028 ; 4-byte Folded Spill
	buffer_store_dword v25, off, s[0:3], 0 offset:3032 ; 4-byte Folded Spill
	buffer_store_dword v26, off, s[0:3], 0 offset:3036 ; 4-byte Folded Spill
	buffer_store_dword v27, off, s[0:3], 0 offset:3040 ; 4-byte Folded Spill
	buffer_store_dword v28, off, s[0:3], 0 offset:3044 ; 4-byte Folded Spill
	buffer_store_dword v29, off, s[0:3], 0 offset:3048 ; 4-byte Folded Spill
	buffer_store_dword v30, off, s[0:3], 0 offset:3052 ; 4-byte Folded Spill
	buffer_store_dword v31, off, s[0:3], 0 offset:3056 ; 4-byte Folded Spill
	v_cndmask_b32_e64 v13, v139, v7, s[8:9]
	buffer_store_dword v0, off, s[0:3], 0 offset:2548 ; 4-byte Folded Spill
	s_nop 0
	buffer_store_dword v1, off, s[0:3], 0 offset:2552 ; 4-byte Folded Spill
	buffer_store_dword v2, off, s[0:3], 0 offset:2556 ; 4-byte Folded Spill
	buffer_store_dword v3, off, s[0:3], 0 offset:2560 ; 4-byte Folded Spill
	buffer_store_dword v4, off, s[0:3], 0 offset:2564 ; 4-byte Folded Spill
	buffer_store_dword v5, off, s[0:3], 0 offset:2568 ; 4-byte Folded Spill
	buffer_store_dword v6, off, s[0:3], 0 offset:2572 ; 4-byte Folded Spill
	buffer_store_dword v7, off, s[0:3], 0 offset:2576 ; 4-byte Folded Spill
	buffer_store_dword v8, off, s[0:3], 0 offset:2580 ; 4-byte Folded Spill
	buffer_store_dword v9, off, s[0:3], 0 offset:2584 ; 4-byte Folded Spill
	buffer_store_dword v10, off, s[0:3], 0 offset:2588 ; 4-byte Folded Spill
	buffer_store_dword v11, off, s[0:3], 0 offset:2592 ; 4-byte Folded Spill
	buffer_store_dword v12, off, s[0:3], 0 offset:2596 ; 4-byte Folded Spill
	buffer_store_dword v13, off, s[0:3], 0 offset:2600 ; 4-byte Folded Spill
	buffer_store_dword v14, off, s[0:3], 0 offset:2604 ; 4-byte Folded Spill
	buffer_store_dword v15, off, s[0:3], 0 offset:2608 ; 4-byte Folded Spill
	buffer_store_dword v16, off, s[0:3], 0 offset:2612 ; 4-byte Folded Spill
	buffer_store_dword v17, off, s[0:3], 0 offset:2616 ; 4-byte Folded Spill
	buffer_store_dword v18, off, s[0:3], 0 offset:2620 ; 4-byte Folded Spill
	buffer_store_dword v19, off, s[0:3], 0 offset:2624 ; 4-byte Folded Spill
	buffer_store_dword v20, off, s[0:3], 0 offset:2628 ; 4-byte Folded Spill
	buffer_store_dword v21, off, s[0:3], 0 offset:2632 ; 4-byte Folded Spill
	buffer_store_dword v22, off, s[0:3], 0 offset:2636 ; 4-byte Folded Spill
	buffer_store_dword v23, off, s[0:3], 0 offset:2640 ; 4-byte Folded Spill
	buffer_store_dword v24, off, s[0:3], 0 offset:2644 ; 4-byte Folded Spill
	buffer_store_dword v25, off, s[0:3], 0 offset:2648 ; 4-byte Folded Spill
	buffer_store_dword v26, off, s[0:3], 0 offset:2652 ; 4-byte Folded Spill
	buffer_store_dword v27, off, s[0:3], 0 offset:2656 ; 4-byte Folded Spill
	buffer_store_dword v28, off, s[0:3], 0 offset:2660 ; 4-byte Folded Spill
	buffer_store_dword v29, off, s[0:3], 0 offset:2664 ; 4-byte Folded Spill
	buffer_store_dword v30, off, s[0:3], 0 offset:2668 ; 4-byte Folded Spill
	buffer_store_dword v31, off, s[0:3], 0 offset:2672 ; 4-byte Folded Spill
	v_cndmask_b32_e64 v14, v132, v6, s[8:9]
	;; [unrolled: 34-line block ×6, first 2 shown]
	buffer_store_dword v0, off, s[0:3], 0 offset:1780 ; 4-byte Folded Spill
	s_nop 0
	buffer_store_dword v1, off, s[0:3], 0 offset:1784 ; 4-byte Folded Spill
	buffer_store_dword v2, off, s[0:3], 0 offset:1788 ; 4-byte Folded Spill
	;; [unrolled: 1-line block ×31, first 2 shown]
	v_cndmask_b32_e32 v15, v119, v9, vcc
	buffer_store_dword v0, off, s[0:3], 0 offset:1396 ; 4-byte Folded Spill
	s_nop 0
	buffer_store_dword v1, off, s[0:3], 0 offset:1400 ; 4-byte Folded Spill
	buffer_store_dword v2, off, s[0:3], 0 offset:1404 ; 4-byte Folded Spill
	;; [unrolled: 1-line block ×31, first 2 shown]
	v_cndmask_b32_e32 v14, v113, v8, vcc
	buffer_store_dword v0, off, s[0:3], 0 offset:1908 ; 4-byte Folded Spill
	s_nop 0
	buffer_store_dword v1, off, s[0:3], 0 offset:1912 ; 4-byte Folded Spill
	buffer_store_dword v2, off, s[0:3], 0 offset:1916 ; 4-byte Folded Spill
	buffer_store_dword v3, off, s[0:3], 0 offset:1920 ; 4-byte Folded Spill
	buffer_store_dword v4, off, s[0:3], 0 offset:1924 ; 4-byte Folded Spill
	buffer_store_dword v5, off, s[0:3], 0 offset:1928 ; 4-byte Folded Spill
	buffer_store_dword v6, off, s[0:3], 0 offset:1932 ; 4-byte Folded Spill
	buffer_store_dword v7, off, s[0:3], 0 offset:1936 ; 4-byte Folded Spill
	buffer_store_dword v8, off, s[0:3], 0 offset:1940 ; 4-byte Folded Spill
	buffer_store_dword v9, off, s[0:3], 0 offset:1944 ; 4-byte Folded Spill
	buffer_store_dword v10, off, s[0:3], 0 offset:1948 ; 4-byte Folded Spill
	buffer_store_dword v11, off, s[0:3], 0 offset:1952 ; 4-byte Folded Spill
	buffer_store_dword v12, off, s[0:3], 0 offset:1956 ; 4-byte Folded Spill
	buffer_store_dword v13, off, s[0:3], 0 offset:1960 ; 4-byte Folded Spill
	buffer_store_dword v14, off, s[0:3], 0 offset:1964 ; 4-byte Folded Spill
	buffer_store_dword v15, off, s[0:3], 0 offset:1968 ; 4-byte Folded Spill
	buffer_store_dword v16, off, s[0:3], 0 offset:1972 ; 4-byte Folded Spill
	buffer_store_dword v17, off, s[0:3], 0 offset:1976 ; 4-byte Folded Spill
	buffer_store_dword v18, off, s[0:3], 0 offset:1980 ; 4-byte Folded Spill
	buffer_store_dword v19, off, s[0:3], 0 offset:1984 ; 4-byte Folded Spill
	buffer_store_dword v20, off, s[0:3], 0 offset:1988 ; 4-byte Folded Spill
	buffer_store_dword v21, off, s[0:3], 0 offset:1992 ; 4-byte Folded Spill
	buffer_store_dword v22, off, s[0:3], 0 offset:1996 ; 4-byte Folded Spill
	buffer_store_dword v23, off, s[0:3], 0 offset:2000 ; 4-byte Folded Spill
	buffer_store_dword v24, off, s[0:3], 0 offset:2004 ; 4-byte Folded Spill
	buffer_store_dword v25, off, s[0:3], 0 offset:2008 ; 4-byte Folded Spill
	buffer_store_dword v26, off, s[0:3], 0 offset:2012 ; 4-byte Folded Spill
	buffer_store_dword v27, off, s[0:3], 0 offset:2016 ; 4-byte Folded Spill
	buffer_store_dword v28, off, s[0:3], 0 offset:2020 ; 4-byte Folded Spill
	buffer_store_dword v29, off, s[0:3], 0 offset:2024 ; 4-byte Folded Spill
	buffer_store_dword v30, off, s[0:3], 0 offset:2028 ; 4-byte Folded Spill
	buffer_store_dword v31, off, s[0:3], 0 offset:2032 ; 4-byte Folded Spill
	v_cndmask_b32_e64 v13, v118, v9, s[8:9]
	buffer_store_dword v0, off, s[0:3], 0 offset:1524 ; 4-byte Folded Spill
	s_nop 0
	buffer_store_dword v1, off, s[0:3], 0 offset:1528 ; 4-byte Folded Spill
	buffer_store_dword v2, off, s[0:3], 0 offset:1532 ; 4-byte Folded Spill
	buffer_store_dword v3, off, s[0:3], 0 offset:1536 ; 4-byte Folded Spill
	buffer_store_dword v4, off, s[0:3], 0 offset:1540 ; 4-byte Folded Spill
	buffer_store_dword v5, off, s[0:3], 0 offset:1544 ; 4-byte Folded Spill
	buffer_store_dword v6, off, s[0:3], 0 offset:1548 ; 4-byte Folded Spill
	buffer_store_dword v7, off, s[0:3], 0 offset:1552 ; 4-byte Folded Spill
	buffer_store_dword v8, off, s[0:3], 0 offset:1556 ; 4-byte Folded Spill
	buffer_store_dword v9, off, s[0:3], 0 offset:1560 ; 4-byte Folded Spill
	buffer_store_dword v10, off, s[0:3], 0 offset:1564 ; 4-byte Folded Spill
	buffer_store_dword v11, off, s[0:3], 0 offset:1568 ; 4-byte Folded Spill
	buffer_store_dword v12, off, s[0:3], 0 offset:1572 ; 4-byte Folded Spill
	buffer_store_dword v13, off, s[0:3], 0 offset:1576 ; 4-byte Folded Spill
	buffer_store_dword v14, off, s[0:3], 0 offset:1580 ; 4-byte Folded Spill
	buffer_store_dword v15, off, s[0:3], 0 offset:1584 ; 4-byte Folded Spill
	buffer_store_dword v16, off, s[0:3], 0 offset:1588 ; 4-byte Folded Spill
	buffer_store_dword v17, off, s[0:3], 0 offset:1592 ; 4-byte Folded Spill
	buffer_store_dword v18, off, s[0:3], 0 offset:1596 ; 4-byte Folded Spill
	buffer_store_dword v19, off, s[0:3], 0 offset:1600 ; 4-byte Folded Spill
	buffer_store_dword v20, off, s[0:3], 0 offset:1604 ; 4-byte Folded Spill
	buffer_store_dword v21, off, s[0:3], 0 offset:1608 ; 4-byte Folded Spill
	buffer_store_dword v22, off, s[0:3], 0 offset:1612 ; 4-byte Folded Spill
	buffer_store_dword v23, off, s[0:3], 0 offset:1616 ; 4-byte Folded Spill
	buffer_store_dword v24, off, s[0:3], 0 offset:1620 ; 4-byte Folded Spill
	buffer_store_dword v25, off, s[0:3], 0 offset:1624 ; 4-byte Folded Spill
	buffer_store_dword v26, off, s[0:3], 0 offset:1628 ; 4-byte Folded Spill
	buffer_store_dword v27, off, s[0:3], 0 offset:1632 ; 4-byte Folded Spill
	buffer_store_dword v28, off, s[0:3], 0 offset:1636 ; 4-byte Folded Spill
	buffer_store_dword v29, off, s[0:3], 0 offset:1640 ; 4-byte Folded Spill
	buffer_store_dword v30, off, s[0:3], 0 offset:1644 ; 4-byte Folded Spill
	buffer_store_dword v31, off, s[0:3], 0 offset:1648 ; 4-byte Folded Spill
	v_cndmask_b32_e64 v14, v99, v8, s[8:9]
	;; [unrolled: 34-line block ×6, first 2 shown]
	buffer_store_dword v0, off, s[0:3], 0 offset:884 ; 4-byte Folded Spill
	s_nop 0
	buffer_store_dword v1, off, s[0:3], 0 offset:888 ; 4-byte Folded Spill
	buffer_store_dword v2, off, s[0:3], 0 offset:892 ; 4-byte Folded Spill
	;; [unrolled: 1-line block ×31, first 2 shown]
	v_cndmask_b32_e32 v15, v154, v81, vcc
	buffer_store_dword v0, off, s[0:3], 0 offset:500 ; 4-byte Folded Spill
	s_nop 0
	buffer_store_dword v1, off, s[0:3], 0 offset:504 ; 4-byte Folded Spill
	buffer_store_dword v2, off, s[0:3], 0 offset:508 ; 4-byte Folded Spill
	;; [unrolled: 1-line block ×31, first 2 shown]
	v_cndmask_b32_e32 v14, v147, v80, vcc
	buffer_store_dword v0, off, s[0:3], 0 offset:1012 ; 4-byte Folded Spill
	s_nop 0
	buffer_store_dword v1, off, s[0:3], 0 offset:1016 ; 4-byte Folded Spill
	buffer_store_dword v2, off, s[0:3], 0 offset:1020 ; 4-byte Folded Spill
	buffer_store_dword v3, off, s[0:3], 0 offset:1024 ; 4-byte Folded Spill
	buffer_store_dword v4, off, s[0:3], 0 offset:1028 ; 4-byte Folded Spill
	buffer_store_dword v5, off, s[0:3], 0 offset:1032 ; 4-byte Folded Spill
	buffer_store_dword v6, off, s[0:3], 0 offset:1036 ; 4-byte Folded Spill
	buffer_store_dword v7, off, s[0:3], 0 offset:1040 ; 4-byte Folded Spill
	buffer_store_dword v8, off, s[0:3], 0 offset:1044 ; 4-byte Folded Spill
	buffer_store_dword v9, off, s[0:3], 0 offset:1048 ; 4-byte Folded Spill
	buffer_store_dword v10, off, s[0:3], 0 offset:1052 ; 4-byte Folded Spill
	buffer_store_dword v11, off, s[0:3], 0 offset:1056 ; 4-byte Folded Spill
	buffer_store_dword v12, off, s[0:3], 0 offset:1060 ; 4-byte Folded Spill
	buffer_store_dword v13, off, s[0:3], 0 offset:1064 ; 4-byte Folded Spill
	buffer_store_dword v14, off, s[0:3], 0 offset:1068 ; 4-byte Folded Spill
	buffer_store_dword v15, off, s[0:3], 0 offset:1072 ; 4-byte Folded Spill
	buffer_store_dword v16, off, s[0:3], 0 offset:1076 ; 4-byte Folded Spill
	buffer_store_dword v17, off, s[0:3], 0 offset:1080 ; 4-byte Folded Spill
	buffer_store_dword v18, off, s[0:3], 0 offset:1084 ; 4-byte Folded Spill
	buffer_store_dword v19, off, s[0:3], 0 offset:1088 ; 4-byte Folded Spill
	buffer_store_dword v20, off, s[0:3], 0 offset:1092 ; 4-byte Folded Spill
	buffer_store_dword v21, off, s[0:3], 0 offset:1096 ; 4-byte Folded Spill
	buffer_store_dword v22, off, s[0:3], 0 offset:1100 ; 4-byte Folded Spill
	buffer_store_dword v23, off, s[0:3], 0 offset:1104 ; 4-byte Folded Spill
	buffer_store_dword v24, off, s[0:3], 0 offset:1108 ; 4-byte Folded Spill
	buffer_store_dword v25, off, s[0:3], 0 offset:1112 ; 4-byte Folded Spill
	buffer_store_dword v26, off, s[0:3], 0 offset:1116 ; 4-byte Folded Spill
	buffer_store_dword v27, off, s[0:3], 0 offset:1120 ; 4-byte Folded Spill
	buffer_store_dword v28, off, s[0:3], 0 offset:1124 ; 4-byte Folded Spill
	buffer_store_dword v29, off, s[0:3], 0 offset:1128 ; 4-byte Folded Spill
	buffer_store_dword v30, off, s[0:3], 0 offset:1132 ; 4-byte Folded Spill
	buffer_store_dword v31, off, s[0:3], 0 offset:1136 ; 4-byte Folded Spill
	v_cndmask_b32_e64 v13, v150, v81, s[8:9]
	buffer_store_dword v0, off, s[0:3], 0 offset:628 ; 4-byte Folded Spill
	s_nop 0
	buffer_store_dword v1, off, s[0:3], 0 offset:632 ; 4-byte Folded Spill
	buffer_store_dword v2, off, s[0:3], 0 offset:636 ; 4-byte Folded Spill
	buffer_store_dword v3, off, s[0:3], 0 offset:640 ; 4-byte Folded Spill
	buffer_store_dword v4, off, s[0:3], 0 offset:644 ; 4-byte Folded Spill
	buffer_store_dword v5, off, s[0:3], 0 offset:648 ; 4-byte Folded Spill
	buffer_store_dword v6, off, s[0:3], 0 offset:652 ; 4-byte Folded Spill
	buffer_store_dword v7, off, s[0:3], 0 offset:656 ; 4-byte Folded Spill
	buffer_store_dword v8, off, s[0:3], 0 offset:660 ; 4-byte Folded Spill
	buffer_store_dword v9, off, s[0:3], 0 offset:664 ; 4-byte Folded Spill
	buffer_store_dword v10, off, s[0:3], 0 offset:668 ; 4-byte Folded Spill
	buffer_store_dword v11, off, s[0:3], 0 offset:672 ; 4-byte Folded Spill
	buffer_store_dword v12, off, s[0:3], 0 offset:676 ; 4-byte Folded Spill
	buffer_store_dword v13, off, s[0:3], 0 offset:680 ; 4-byte Folded Spill
	buffer_store_dword v14, off, s[0:3], 0 offset:684 ; 4-byte Folded Spill
	buffer_store_dword v15, off, s[0:3], 0 offset:688 ; 4-byte Folded Spill
	buffer_store_dword v16, off, s[0:3], 0 offset:692 ; 4-byte Folded Spill
	buffer_store_dword v17, off, s[0:3], 0 offset:696 ; 4-byte Folded Spill
	buffer_store_dword v18, off, s[0:3], 0 offset:700 ; 4-byte Folded Spill
	buffer_store_dword v19, off, s[0:3], 0 offset:704 ; 4-byte Folded Spill
	buffer_store_dword v20, off, s[0:3], 0 offset:708 ; 4-byte Folded Spill
	buffer_store_dword v21, off, s[0:3], 0 offset:712 ; 4-byte Folded Spill
	buffer_store_dword v22, off, s[0:3], 0 offset:716 ; 4-byte Folded Spill
	buffer_store_dword v23, off, s[0:3], 0 offset:720 ; 4-byte Folded Spill
	buffer_store_dword v24, off, s[0:3], 0 offset:724 ; 4-byte Folded Spill
	buffer_store_dword v25, off, s[0:3], 0 offset:728 ; 4-byte Folded Spill
	buffer_store_dword v26, off, s[0:3], 0 offset:732 ; 4-byte Folded Spill
	buffer_store_dword v27, off, s[0:3], 0 offset:736 ; 4-byte Folded Spill
	buffer_store_dword v28, off, s[0:3], 0 offset:740 ; 4-byte Folded Spill
	buffer_store_dword v29, off, s[0:3], 0 offset:744 ; 4-byte Folded Spill
	buffer_store_dword v30, off, s[0:3], 0 offset:748 ; 4-byte Folded Spill
	buffer_store_dword v31, off, s[0:3], 0 offset:752 ; 4-byte Folded Spill
	v_cndmask_b32_e64 v14, v146, v80, s[8:9]
	;; [unrolled: 34-line block ×5, first 2 shown]
	s_mov_b32 s12, 0x43d00
	buffer_store_dword v0, off, s[0:3], s12 ; 4-byte Folded Spill
	s_nop 0
	buffer_store_dword v1, off, s[0:3], s12 offset:4 ; 4-byte Folded Spill
	buffer_store_dword v2, off, s[0:3], s12 offset:8 ; 4-byte Folded Spill
	;; [unrolled: 1-line block ×31, first 2 shown]
	v_cndmask_b32_e32 v15, v62, v11, vcc
	buffer_store_dword v0, off, s[0:3], 0 offset:3572 ; 4-byte Folded Spill
	s_nop 0
	buffer_store_dword v1, off, s[0:3], 0 offset:3576 ; 4-byte Folded Spill
	buffer_store_dword v2, off, s[0:3], 0 offset:3580 ; 4-byte Folded Spill
	;; [unrolled: 1-line block ×31, first 2 shown]
	v_cndmask_b32_e32 v14, v58, v10, vcc
	buffer_store_dword v0, off, s[0:3], 0 offset:3956 ; 4-byte Folded Spill
	s_nop 0
	buffer_store_dword v1, off, s[0:3], 0 offset:3960 ; 4-byte Folded Spill
	buffer_store_dword v2, off, s[0:3], 0 offset:3964 ; 4-byte Folded Spill
	;; [unrolled: 1-line block ×31, first 2 shown]
	v_cndmask_b32_e64 v13, v61, v11, s[8:9]
	buffer_store_dword v0, off, s[0:3], 0 offset:3700 ; 4-byte Folded Spill
	s_nop 0
	buffer_store_dword v1, off, s[0:3], 0 offset:3704 ; 4-byte Folded Spill
	buffer_store_dword v2, off, s[0:3], 0 offset:3708 ; 4-byte Folded Spill
	;; [unrolled: 1-line block ×31, first 2 shown]
	v_cndmask_b32_e64 v14, v57, v10, s[8:9]
	s_mov_b32 s8, 0x3fd00
	buffer_store_dword v2, off, s[0:3], s8  ; 4-byte Folded Spill
	s_nop 0
	buffer_store_dword v3, off, s[0:3], s8 offset:4 ; 4-byte Folded Spill
	buffer_store_dword v4, off, s[0:3], s8 offset:8 ; 4-byte Folded Spill
	;; [unrolled: 1-line block ×31, first 2 shown]
	s_mov_b32 s8, 0x41d00
	v_cndmask_b32_e64 v11, v60, v11, s[10:11]
	buffer_store_dword v0, off, s[0:3], 0 offset:3828 ; 4-byte Folded Spill
	s_nop 0
	buffer_store_dword v1, off, s[0:3], 0 offset:3832 ; 4-byte Folded Spill
	buffer_store_dword v2, off, s[0:3], 0 offset:3836 ; 4-byte Folded Spill
	;; [unrolled: 1-line block ×31, first 2 shown]
	v_cndmask_b32_e64 v10, v56, v10, s[10:11]
	buffer_store_dword v0, off, s[0:3], s8  ; 4-byte Folded Spill
	s_nop 0
	buffer_store_dword v1, off, s[0:3], s8 offset:4 ; 4-byte Folded Spill
	buffer_store_dword v2, off, s[0:3], s8 offset:8 ; 4-byte Folded Spill
	;; [unrolled: 1-line block ×31, first 2 shown]
	v_pk_mov_b32 v[120:121], v[28:29], v[28:29] op_sel:[0,1]
.LBB0_39:
	s_or_b64 exec, exec, s[58:59]
	buffer_store_dword v129, off, s[0:3], 0 offset:96
	s_mov_b64 s[20:21], exec
	s_mov_b32 s10, 0x45f00
	buffer_load_dword v20, off, s[0:3], s10 ; 4-byte Folded Reload
	buffer_load_dword v21, off, s[0:3], s10 offset:4 ; 4-byte Folded Reload
	buffer_load_dword v22, off, s[0:3], s10 offset:8 ; 4-byte Folded Reload
	;; [unrolled: 1-line block ×31, first 2 shown]
	s_and_b64 s[8:9], s[20:21], s[4:5]
	s_waitcnt vmcnt(24)
	v_pk_mov_b32 v[118:119], v[26:27], v[26:27] op_sel:[0,1]
	s_mov_b64 exec, s[8:9]
	s_cbranch_execz .LBB0_48
; %bb.40:
	s_mov_b64 s[22:23], 0
	s_branch .LBB0_42
.LBB0_41:                               ;   in Loop: Header=BB0_42 Depth=1
	s_or_b64 exec, exec, s[10:11]
	s_waitcnt vmcnt(0)
	v_cmp_gt_i32_e32 vcc, 0, v6
	s_or_b64 s[22:23], vcc, s[22:23]
	v_mov_b32_e32 v125, v6
	s_andn2_b64 exec, exec, s[22:23]
	s_cbranch_execz .LBB0_48
.LBB0_42:                               ; =>This Inner Loop Header: Depth=1
	buffer_load_dword v20, off, s[0:3], 0 offset:244 ; 4-byte Folded Reload
	buffer_load_dword v21, off, s[0:3], 0 offset:248 ; 4-byte Folded Reload
	;; [unrolled: 1-line block ×32, first 2 shown]
	v_cmp_eq_u32_e32 vcc, 1, v125
	v_cndmask_b32_e32 v6, v107, v105, vcc
	v_cmp_eq_u32_e64 s[8:9], 2, v125
	v_cndmask_b32_e64 v6, v6, v89, s[8:9]
	v_cmp_eq_u32_e64 s[10:11], 3, v125
	v_cndmask_b32_e64 v6, v6, v121, s[10:11]
	v_cmp_eq_u32_e64 s[12:13], 4, v125
	v_cmp_eq_u32_e64 s[14:15], 5, v125
	;; [unrolled: 1-line block ×4, first 2 shown]
	v_cndmask_b32_e32 v7, v106, v104, vcc
	v_cndmask_b32_e64 v7, v7, v88, s[8:9]
	v_cndmask_b32_e64 v7, v7, v120, s[10:11]
	v_cmp_eq_u32_e32 vcc, 8, v125
	s_mov_b64 s[8:9], 0
	s_waitcnt vmcnt(22)
	v_pk_mov_b32 v[8:9], v[28:29], v[28:29] op_sel:[0,1]
	buffer_load_dword v14, off, s[0:3], 0 offset:1652 ; 4-byte Folded Reload
	buffer_load_dword v15, off, s[0:3], 0 offset:1656 ; 4-byte Folded Reload
	;; [unrolled: 1-line block ×32, first 2 shown]
	v_cndmask_b32_e64 v6, v6, v9, s[12:13]
	v_cndmask_b32_e64 v7, v7, v8, s[12:13]
	s_waitcnt vmcnt(20)
	v_cndmask_b32_e64 v6, v6, v25, s[14:15]
	buffer_load_dword v14, off, s[0:3], 0 offset:1524 ; 4-byte Folded Reload
	buffer_load_dword v15, off, s[0:3], 0 offset:1528 ; 4-byte Folded Reload
	buffer_load_dword v16, off, s[0:3], 0 offset:1532 ; 4-byte Folded Reload
	buffer_load_dword v17, off, s[0:3], 0 offset:1536 ; 4-byte Folded Reload
	buffer_load_dword v18, off, s[0:3], 0 offset:1540 ; 4-byte Folded Reload
	buffer_load_dword v19, off, s[0:3], 0 offset:1544 ; 4-byte Folded Reload
	buffer_load_dword v20, off, s[0:3], 0 offset:1548 ; 4-byte Folded Reload
	buffer_load_dword v21, off, s[0:3], 0 offset:1552 ; 4-byte Folded Reload
	buffer_load_dword v22, off, s[0:3], 0 offset:1556 ; 4-byte Folded Reload
	buffer_load_dword v23, off, s[0:3], 0 offset:1560 ; 4-byte Folded Reload
	buffer_load_dword v24, off, s[0:3], 0 offset:1564 ; 4-byte Folded Reload
	buffer_load_dword v25, off, s[0:3], 0 offset:1568 ; 4-byte Folded Reload
	buffer_load_dword v26, off, s[0:3], 0 offset:1572 ; 4-byte Folded Reload
	buffer_load_dword v27, off, s[0:3], 0 offset:1576 ; 4-byte Folded Reload
	buffer_load_dword v28, off, s[0:3], 0 offset:1580 ; 4-byte Folded Reload
	buffer_load_dword v29, off, s[0:3], 0 offset:1584 ; 4-byte Folded Reload
	buffer_load_dword v30, off, s[0:3], 0 offset:1588 ; 4-byte Folded Reload
	buffer_load_dword v31, off, s[0:3], 0 offset:1592 ; 4-byte Folded Reload
	buffer_load_dword v32, off, s[0:3], 0 offset:1596 ; 4-byte Folded Reload
	buffer_load_dword v33, off, s[0:3], 0 offset:1600 ; 4-byte Folded Reload
	buffer_load_dword v34, off, s[0:3], 0 offset:1604 ; 4-byte Folded Reload
	buffer_load_dword v35, off, s[0:3], 0 offset:1608 ; 4-byte Folded Reload
	buffer_load_dword v36, off, s[0:3], 0 offset:1612 ; 4-byte Folded Reload
	buffer_load_dword v37, off, s[0:3], 0 offset:1616 ; 4-byte Folded Reload
	buffer_load_dword v38, off, s[0:3], 0 offset:1620 ; 4-byte Folded Reload
	buffer_load_dword v39, off, s[0:3], 0 offset:1624 ; 4-byte Folded Reload
	buffer_load_dword v40, off, s[0:3], 0 offset:1628 ; 4-byte Folded Reload
	buffer_load_dword v41, off, s[0:3], 0 offset:1632 ; 4-byte Folded Reload
	buffer_load_dword v42, off, s[0:3], 0 offset:1636 ; 4-byte Folded Reload
	buffer_load_dword v43, off, s[0:3], 0 offset:1640 ; 4-byte Folded Reload
	buffer_load_dword v44, off, s[0:3], 0 offset:1644 ; 4-byte Folded Reload
	buffer_load_dword v45, off, s[0:3], 0 offset:1648 ; 4-byte Folded Reload
	s_waitcnt vmcnt(18)
	v_cndmask_b32_e64 v6, v6, v27, s[16:17]
	buffer_load_dword v14, off, s[0:3], 0 offset:1396 ; 4-byte Folded Reload
	buffer_load_dword v15, off, s[0:3], 0 offset:1400 ; 4-byte Folded Reload
	buffer_load_dword v16, off, s[0:3], 0 offset:1404 ; 4-byte Folded Reload
	buffer_load_dword v17, off, s[0:3], 0 offset:1408 ; 4-byte Folded Reload
	buffer_load_dword v18, off, s[0:3], 0 offset:1412 ; 4-byte Folded Reload
	buffer_load_dword v19, off, s[0:3], 0 offset:1416 ; 4-byte Folded Reload
	buffer_load_dword v20, off, s[0:3], 0 offset:1420 ; 4-byte Folded Reload
	buffer_load_dword v21, off, s[0:3], 0 offset:1424 ; 4-byte Folded Reload
	buffer_load_dword v22, off, s[0:3], 0 offset:1428 ; 4-byte Folded Reload
	buffer_load_dword v23, off, s[0:3], 0 offset:1432 ; 4-byte Folded Reload
	buffer_load_dword v24, off, s[0:3], 0 offset:1436 ; 4-byte Folded Reload
	buffer_load_dword v25, off, s[0:3], 0 offset:1440 ; 4-byte Folded Reload
	buffer_load_dword v26, off, s[0:3], 0 offset:1444 ; 4-byte Folded Reload
	buffer_load_dword v27, off, s[0:3], 0 offset:1448 ; 4-byte Folded Reload
	buffer_load_dword v28, off, s[0:3], 0 offset:1452 ; 4-byte Folded Reload
	buffer_load_dword v29, off, s[0:3], 0 offset:1456 ; 4-byte Folded Reload
	buffer_load_dword v30, off, s[0:3], 0 offset:1460 ; 4-byte Folded Reload
	buffer_load_dword v31, off, s[0:3], 0 offset:1464 ; 4-byte Folded Reload
	buffer_load_dword v32, off, s[0:3], 0 offset:1468 ; 4-byte Folded Reload
	buffer_load_dword v33, off, s[0:3], 0 offset:1472 ; 4-byte Folded Reload
	buffer_load_dword v34, off, s[0:3], 0 offset:1476 ; 4-byte Folded Reload
	buffer_load_dword v35, off, s[0:3], 0 offset:1480 ; 4-byte Folded Reload
	buffer_load_dword v36, off, s[0:3], 0 offset:1484 ; 4-byte Folded Reload
	buffer_load_dword v37, off, s[0:3], 0 offset:1488 ; 4-byte Folded Reload
	buffer_load_dword v38, off, s[0:3], 0 offset:1492 ; 4-byte Folded Reload
	buffer_load_dword v39, off, s[0:3], 0 offset:1496 ; 4-byte Folded Reload
	buffer_load_dword v40, off, s[0:3], 0 offset:1500 ; 4-byte Folded Reload
	buffer_load_dword v41, off, s[0:3], 0 offset:1504 ; 4-byte Folded Reload
	buffer_load_dword v42, off, s[0:3], 0 offset:1508 ; 4-byte Folded Reload
	buffer_load_dword v43, off, s[0:3], 0 offset:1512 ; 4-byte Folded Reload
	buffer_load_dword v44, off, s[0:3], 0 offset:1516 ; 4-byte Folded Reload
	buffer_load_dword v45, off, s[0:3], 0 offset:1520 ; 4-byte Folded Reload
	;; [unrolled: 34-line block ×6, first 2 shown]
	s_waitcnt vmcnt(14)
	v_cndmask_b32_e32 v7, v6, v31, vcc
	buffer_load_dword v14, off, s[0:3], 0 offset:1780 ; 4-byte Folded Reload
	buffer_load_dword v15, off, s[0:3], 0 offset:1784 ; 4-byte Folded Reload
	;; [unrolled: 1-line block ×32, first 2 shown]
	s_waitcnt vmcnt(15)
	v_cndmask_b32_e32 v6, v8, v30, vcc
	v_cmp_ngt_f64_e32 vcc, 0, v[6:7]
	buffer_load_dword v6, off, s[0:3], 0 offset:112 ; 4-byte Folded Reload
                                        ; implicit-def: $vgpr7
	s_waitcnt vmcnt(0)
	v_lshl_add_u32 v8, v125, 2, v6
	buffer_load_dword v6, v8, s[0:3], 0 offen
	s_and_saveexec_b64 s[10:11], vcc
	s_xor_b64 s[10:11], exec, s[10:11]
	s_cbranch_execnz .LBB0_45
; %bb.43:                               ;   in Loop: Header=BB0_42 Depth=1
	s_andn2_saveexec_b64 s[10:11], s[10:11]
	s_cbranch_execnz .LBB0_46
.LBB0_44:                               ;   in Loop: Header=BB0_42 Depth=1
	s_or_b64 exec, exec, s[10:11]
	s_and_saveexec_b64 s[10:11], s[8:9]
	s_cbranch_execz .LBB0_41
	s_branch .LBB0_47
.LBB0_45:                               ;   in Loop: Header=BB0_42 Depth=1
	buffer_load_dword v7, off, s[0:3], 0 offset:96
                                        ; implicit-def: $vgpr8
	s_waitcnt vmcnt(0)
	v_cmp_eq_u32_e32 vcc, -1, v7
	v_mov_b32_e32 v7, 0x60
	s_and_b64 s[8:9], vcc, exec
	s_andn2_saveexec_b64 s[10:11], s[10:11]
	s_cbranch_execz .LBB0_44
.LBB0_46:                               ;   in Loop: Header=BB0_42 Depth=1
	buffer_load_dword v9, off, s[0:3], 0 offset:100
	v_mov_b32_e32 v7, 0x64
	s_or_b64 s[8:9], s[8:9], exec
	s_waitcnt vmcnt(0)
	buffer_store_dword v9, v8, s[0:3], 0 offen
	s_or_b64 exec, exec, s[10:11]
	s_and_saveexec_b64 s[10:11], s[8:9]
	s_cbranch_execz .LBB0_41
.LBB0_47:                               ;   in Loop: Header=BB0_42 Depth=1
	buffer_store_dword v125, v7, s[0:3], 0 offen
	s_branch .LBB0_41
.LBB0_48:
	s_or_b64 exec, exec, s[20:21]
	s_mov_b64 s[8:9], exec
	buffer_load_dword v13, off, s[0:3], 0 offset:112 ; 4-byte Folded Reload
	s_and_b64 s[6:7], s[8:9], s[6:7]
	s_mov_b64 exec, s[6:7]
	s_cbranch_execz .LBB0_50
; %bb.49:
	v_cmp_gt_f64_e32 vcc, 0, v[142:143]
	v_mov_b32_e32 v2, 16
	v_cmp_gt_f64_e64 s[6:7], 0, v[144:145]
	s_and_b64 s[4:5], s[4:5], vcc
	v_lshl_add_u32 v3, v126, 2, v2
	s_or_b64 s[4:5], s[6:7], s[4:5]
	v_lshl_add_u32 v6, v128, 2, v2
	v_cndmask_b32_e64 v4, v127, -1, s[4:5]
	v_lshl_add_u32 v2, v12, 2, v2
	buffer_store_dword v128, v3, s[0:3], 0 offen offset:40
	buffer_store_dword v12, v6, s[0:3], 0 offen offset:40
	;; [unrolled: 1-line block ×3, first 2 shown]
.LBB0_50:
	s_or_b64 exec, exec, s[8:9]
	buffer_load_dword v123, off, s[0:3], 0 offset:96
	buffer_load_dword v18, off, s[0:3], 0 offset:756 ; 4-byte Folded Reload
	buffer_load_dword v19, off, s[0:3], 0 offset:760 ; 4-byte Folded Reload
	;; [unrolled: 1-line block ×32, first 2 shown]
	v_pk_mov_b32 v[96:97], -1, -1
	v_mov_b32_e32 v124, -1
	v_mov_b32_e32 v125, -1
	v_pk_mov_b32 v[138:139], 0, 0
	v_pk_mov_b32 v[8:9], v[96:97], v[96:97] op_sel:[0,1]
	s_waitcnt vmcnt(32)
	v_cmp_eq_u32_e32 vcc, 1, v123
	v_cndmask_b32_e32 v2, v153, v137, vcc
	v_cmp_eq_u32_e64 s[4:5], 2, v123
	v_cndmask_b32_e64 v2, v2, v159, s[4:5]
	v_cmp_eq_u32_e64 s[6:7], 3, v123
	v_cndmask_b32_e64 v2, v2, v119, s[6:7]
	v_cndmask_b32_e32 v3, v152, v136, vcc
	v_cmp_eq_u32_e32 vcc, 4, v123
	v_cndmask_b32_e64 v3, v3, v158, s[4:5]
	v_cndmask_b32_e32 v2, v2, v77, vcc
	v_cmp_eq_u32_e64 s[4:5], 5, v123
	s_waitcnt vmcnt(20)
	v_cndmask_b32_e64 v2, v2, v29, s[4:5]
	buffer_load_dword v18, off, s[0:3], 0 offset:628 ; 4-byte Folded Reload
	buffer_load_dword v19, off, s[0:3], 0 offset:632 ; 4-byte Folded Reload
	;; [unrolled: 1-line block ×32, first 2 shown]
	v_cndmask_b32_e64 v3, v3, v118, s[6:7]
	v_cndmask_b32_e32 v3, v3, v76, vcc
	v_cmp_eq_u32_e32 vcc, 6, v123
	v_cndmask_b32_e64 v3, v3, v112, s[4:5]
	v_cmp_eq_u32_e64 s[4:5], 7, v123
	s_waitcnt vmcnt(18)
	v_cndmask_b32_e32 v2, v2, v31, vcc
	buffer_load_dword v18, off, s[0:3], 0 offset:500 ; 4-byte Folded Reload
	buffer_load_dword v19, off, s[0:3], 0 offset:504 ; 4-byte Folded Reload
	buffer_load_dword v20, off, s[0:3], 0 offset:508 ; 4-byte Folded Reload
	buffer_load_dword v21, off, s[0:3], 0 offset:512 ; 4-byte Folded Reload
	buffer_load_dword v22, off, s[0:3], 0 offset:516 ; 4-byte Folded Reload
	buffer_load_dword v23, off, s[0:3], 0 offset:520 ; 4-byte Folded Reload
	buffer_load_dword v24, off, s[0:3], 0 offset:524 ; 4-byte Folded Reload
	buffer_load_dword v25, off, s[0:3], 0 offset:528 ; 4-byte Folded Reload
	buffer_load_dword v26, off, s[0:3], 0 offset:532 ; 4-byte Folded Reload
	buffer_load_dword v27, off, s[0:3], 0 offset:536 ; 4-byte Folded Reload
	buffer_load_dword v28, off, s[0:3], 0 offset:540 ; 4-byte Folded Reload
	buffer_load_dword v29, off, s[0:3], 0 offset:544 ; 4-byte Folded Reload
	buffer_load_dword v30, off, s[0:3], 0 offset:548 ; 4-byte Folded Reload
	buffer_load_dword v31, off, s[0:3], 0 offset:552 ; 4-byte Folded Reload
	buffer_load_dword v32, off, s[0:3], 0 offset:556 ; 4-byte Folded Reload
	buffer_load_dword v33, off, s[0:3], 0 offset:560 ; 4-byte Folded Reload
	buffer_load_dword v34, off, s[0:3], 0 offset:564 ; 4-byte Folded Reload
	buffer_load_dword v35, off, s[0:3], 0 offset:568 ; 4-byte Folded Reload
	buffer_load_dword v36, off, s[0:3], 0 offset:572 ; 4-byte Folded Reload
	buffer_load_dword v37, off, s[0:3], 0 offset:576 ; 4-byte Folded Reload
	buffer_load_dword v38, off, s[0:3], 0 offset:580 ; 4-byte Folded Reload
	buffer_load_dword v39, off, s[0:3], 0 offset:584 ; 4-byte Folded Reload
	buffer_load_dword v40, off, s[0:3], 0 offset:588 ; 4-byte Folded Reload
	buffer_load_dword v41, off, s[0:3], 0 offset:592 ; 4-byte Folded Reload
	buffer_load_dword v42, off, s[0:3], 0 offset:596 ; 4-byte Folded Reload
	buffer_load_dword v43, off, s[0:3], 0 offset:600 ; 4-byte Folded Reload
	buffer_load_dword v44, off, s[0:3], 0 offset:604 ; 4-byte Folded Reload
	buffer_load_dword v45, off, s[0:3], 0 offset:608 ; 4-byte Folded Reload
	buffer_load_dword v46, off, s[0:3], 0 offset:612 ; 4-byte Folded Reload
	buffer_load_dword v47, off, s[0:3], 0 offset:616 ; 4-byte Folded Reload
	buffer_load_dword v48, off, s[0:3], 0 offset:620 ; 4-byte Folded Reload
	buffer_load_dword v49, off, s[0:3], 0 offset:624 ; 4-byte Folded Reload
	s_waitcnt vmcnt(16)
	v_cndmask_b32_e64 v2, v2, v33, s[4:5]
	buffer_load_dword v18, off, s[0:3], 0 offset:1140 ; 4-byte Folded Reload
	buffer_load_dword v19, off, s[0:3], 0 offset:1144 ; 4-byte Folded Reload
	;; [unrolled: 1-line block ×32, first 2 shown]
	s_waitcnt vmcnt(19)
	v_cndmask_b32_e32 v3, v3, v30, vcc
	buffer_load_dword v18, off, s[0:3], 0 offset:1012 ; 4-byte Folded Reload
	buffer_load_dword v19, off, s[0:3], 0 offset:1016 ; 4-byte Folded Reload
	;; [unrolled: 1-line block ×32, first 2 shown]
	v_cmp_eq_u32_e32 vcc, 8, v123
	s_waitcnt vmcnt(17)
	v_cndmask_b32_e64 v4, v3, v32, s[4:5]
	buffer_load_dword v18, off, s[0:3], 0 offset:372 ; 4-byte Folded Reload
	buffer_load_dword v19, off, s[0:3], 0 offset:376 ; 4-byte Folded Reload
	;; [unrolled: 1-line block ×32, first 2 shown]
	v_cmp_lt_i32_e64 s[4:5], -1, v123
	s_waitcnt vmcnt(14)
	v_cndmask_b32_e32 v133, v2, v35, vcc
	buffer_load_dword v18, off, s[0:3], 0 offset:884 ; 4-byte Folded Reload
	buffer_load_dword v19, off, s[0:3], 0 offset:888 ; 4-byte Folded Reload
	;; [unrolled: 1-line block ×32, first 2 shown]
	s_waitcnt vmcnt(15)
	v_cndmask_b32_e32 v132, v4, v34, vcc
	s_and_saveexec_b64 s[14:15], s[4:5]
	s_cbranch_execz .LBB0_54
; %bb.51:
	buffer_load_dword v20, off, s[0:3], 0 offset:372 ; 4-byte Folded Reload
	buffer_load_dword v21, off, s[0:3], 0 offset:376 ; 4-byte Folded Reload
	;; [unrolled: 1-line block ×32, first 2 shown]
	s_mov_b64 s[16:17], 0
	v_mov_b32_e32 v124, -1
	v_mov_b32_e32 v7, v123
	v_mov_b32_e32 v96, -1
	v_mov_b32_e32 v8, -1
	;; [unrolled: 1-line block ×3, first 2 shown]
	v_pk_mov_b32 v[10:11], v[132:133], v[132:133] op_sel:[0,1]
	s_waitcnt vmcnt(14)
	v_mov_b32_e32 v19, v37
	buffer_load_dword v20, off, s[0:3], 0 offset:500 ; 4-byte Folded Reload
	buffer_load_dword v21, off, s[0:3], 0 offset:504 ; 4-byte Folded Reload
	buffer_load_dword v22, off, s[0:3], 0 offset:508 ; 4-byte Folded Reload
	buffer_load_dword v23, off, s[0:3], 0 offset:512 ; 4-byte Folded Reload
	buffer_load_dword v24, off, s[0:3], 0 offset:516 ; 4-byte Folded Reload
	buffer_load_dword v25, off, s[0:3], 0 offset:520 ; 4-byte Folded Reload
	buffer_load_dword v26, off, s[0:3], 0 offset:524 ; 4-byte Folded Reload
	buffer_load_dword v27, off, s[0:3], 0 offset:528 ; 4-byte Folded Reload
	buffer_load_dword v28, off, s[0:3], 0 offset:532 ; 4-byte Folded Reload
	buffer_load_dword v29, off, s[0:3], 0 offset:536 ; 4-byte Folded Reload
	buffer_load_dword v30, off, s[0:3], 0 offset:540 ; 4-byte Folded Reload
	buffer_load_dword v31, off, s[0:3], 0 offset:544 ; 4-byte Folded Reload
	buffer_load_dword v32, off, s[0:3], 0 offset:548 ; 4-byte Folded Reload
	buffer_load_dword v33, off, s[0:3], 0 offset:552 ; 4-byte Folded Reload
	buffer_load_dword v34, off, s[0:3], 0 offset:556 ; 4-byte Folded Reload
	buffer_load_dword v35, off, s[0:3], 0 offset:560 ; 4-byte Folded Reload
	buffer_load_dword v36, off, s[0:3], 0 offset:564 ; 4-byte Folded Reload
	buffer_load_dword v37, off, s[0:3], 0 offset:568 ; 4-byte Folded Reload
	buffer_load_dword v38, off, s[0:3], 0 offset:572 ; 4-byte Folded Reload
	buffer_load_dword v39, off, s[0:3], 0 offset:576 ; 4-byte Folded Reload
	buffer_load_dword v40, off, s[0:3], 0 offset:580 ; 4-byte Folded Reload
	buffer_load_dword v41, off, s[0:3], 0 offset:584 ; 4-byte Folded Reload
	buffer_load_dword v42, off, s[0:3], 0 offset:588 ; 4-byte Folded Reload
	buffer_load_dword v43, off, s[0:3], 0 offset:592 ; 4-byte Folded Reload
	buffer_load_dword v44, off, s[0:3], 0 offset:596 ; 4-byte Folded Reload
	buffer_load_dword v45, off, s[0:3], 0 offset:600 ; 4-byte Folded Reload
	buffer_load_dword v46, off, s[0:3], 0 offset:604 ; 4-byte Folded Reload
	buffer_load_dword v47, off, s[0:3], 0 offset:608 ; 4-byte Folded Reload
	buffer_load_dword v48, off, s[0:3], 0 offset:612 ; 4-byte Folded Reload
	buffer_load_dword v49, off, s[0:3], 0 offset:616 ; 4-byte Folded Reload
	buffer_load_dword v50, off, s[0:3], 0 offset:620 ; 4-byte Folded Reload
	buffer_load_dword v51, off, s[0:3], 0 offset:624 ; 4-byte Folded Reload
	s_waitcnt vmcnt(16)
	v_mov_b32_e32 v15, v35
	buffer_load_dword v20, off, s[0:3], 0 offset:628 ; 4-byte Folded Reload
	buffer_load_dword v21, off, s[0:3], 0 offset:632 ; 4-byte Folded Reload
	buffer_load_dword v22, off, s[0:3], 0 offset:636 ; 4-byte Folded Reload
	buffer_load_dword v23, off, s[0:3], 0 offset:640 ; 4-byte Folded Reload
	buffer_load_dword v24, off, s[0:3], 0 offset:644 ; 4-byte Folded Reload
	buffer_load_dword v25, off, s[0:3], 0 offset:648 ; 4-byte Folded Reload
	buffer_load_dword v26, off, s[0:3], 0 offset:652 ; 4-byte Folded Reload
	buffer_load_dword v27, off, s[0:3], 0 offset:656 ; 4-byte Folded Reload
	buffer_load_dword v28, off, s[0:3], 0 offset:660 ; 4-byte Folded Reload
	buffer_load_dword v29, off, s[0:3], 0 offset:664 ; 4-byte Folded Reload
	buffer_load_dword v30, off, s[0:3], 0 offset:668 ; 4-byte Folded Reload
	buffer_load_dword v31, off, s[0:3], 0 offset:672 ; 4-byte Folded Reload
	buffer_load_dword v32, off, s[0:3], 0 offset:676 ; 4-byte Folded Reload
	buffer_load_dword v33, off, s[0:3], 0 offset:680 ; 4-byte Folded Reload
	buffer_load_dword v34, off, s[0:3], 0 offset:684 ; 4-byte Folded Reload
	buffer_load_dword v35, off, s[0:3], 0 offset:688 ; 4-byte Folded Reload
	buffer_load_dword v36, off, s[0:3], 0 offset:692 ; 4-byte Folded Reload
	buffer_load_dword v37, off, s[0:3], 0 offset:696 ; 4-byte Folded Reload
	buffer_load_dword v38, off, s[0:3], 0 offset:700 ; 4-byte Folded Reload
	buffer_load_dword v39, off, s[0:3], 0 offset:704 ; 4-byte Folded Reload
	buffer_load_dword v40, off, s[0:3], 0 offset:708 ; 4-byte Folded Reload
	buffer_load_dword v41, off, s[0:3], 0 offset:712 ; 4-byte Folded Reload
	buffer_load_dword v42, off, s[0:3], 0 offset:716 ; 4-byte Folded Reload
	buffer_load_dword v43, off, s[0:3], 0 offset:720 ; 4-byte Folded Reload
	buffer_load_dword v44, off, s[0:3], 0 offset:724 ; 4-byte Folded Reload
	buffer_load_dword v45, off, s[0:3], 0 offset:728 ; 4-byte Folded Reload
	buffer_load_dword v46, off, s[0:3], 0 offset:732 ; 4-byte Folded Reload
	buffer_load_dword v47, off, s[0:3], 0 offset:736 ; 4-byte Folded Reload
	buffer_load_dword v48, off, s[0:3], 0 offset:740 ; 4-byte Folded Reload
	buffer_load_dword v49, off, s[0:3], 0 offset:744 ; 4-byte Folded Reload
	buffer_load_dword v50, off, s[0:3], 0 offset:748 ; 4-byte Folded Reload
	buffer_load_dword v51, off, s[0:3], 0 offset:752 ; 4-byte Folded Reload
	;; [unrolled: 34-line block ×3, first 2 shown]
	buffer_load_dword v34, off, s[0:3], 0 offset:884 ; 4-byte Folded Reload
	buffer_load_dword v35, off, s[0:3], 0 offset:888 ; 4-byte Folded Reload
	;; [unrolled: 1-line block ×32, first 2 shown]
	s_waitcnt vmcnt(52)
	v_mov_b32_e32 v23, v33
	s_waitcnt vmcnt(15)
	v_mov_b32_e32 v20, v50
	buffer_load_dword v24, off, s[0:3], 0 offset:1012 ; 4-byte Folded Reload
	buffer_load_dword v25, off, s[0:3], 0 offset:1016 ; 4-byte Folded Reload
	;; [unrolled: 1-line block ×32, first 2 shown]
	s_waitcnt vmcnt(17)
	v_mov_b32_e32 v22, v38
	buffer_load_dword v24, off, s[0:3], 0 offset:1140 ; 4-byte Folded Reload
	buffer_load_dword v25, off, s[0:3], 0 offset:1144 ; 4-byte Folded Reload
	;; [unrolled: 1-line block ×32, first 2 shown]
	s_waitcnt vmcnt(19)
	v_mov_b32_e32 v24, v36
.LBB0_52:                               ; =>This Inner Loop Header: Depth=1
	s_waitcnt vmcnt(0)
	v_lshl_add_u32 v4, v7, 2, v13
	buffer_load_dword v9, v4, s[0:3], 0 offen
	v_pk_mov_b32 v[138:139], v[10:11], v[10:11] op_sel:[0,1]
	s_waitcnt vmcnt(0)
	v_cmp_gt_i32_e32 vcc, 0, v9
	v_cndmask_b32_e32 v14, v9, v123, vcc
	v_cmp_eq_u32_e64 s[6:7], 1, v14
	v_cndmask_b32_e64 v4, v153, v137, s[6:7]
	v_cmp_eq_u32_e64 s[8:9], 2, v14
	v_cndmask_b32_e64 v5, v152, v136, s[6:7]
	v_cndmask_b32_e64 v4, v4, v159, s[8:9]
	v_cmp_eq_u32_e64 s[10:11], 3, v14
	v_cndmask_b32_e64 v5, v5, v158, s[8:9]
	;; [unrolled: 3-line block ×6, first 2 shown]
	v_cndmask_b32_e64 v4, v4, v15, s[8:9]
	v_cndmask_b32_e64 v5, v5, v22, s[8:9]
	v_cmp_eq_u32_e64 s[6:7], 8, v14
	v_cndmask_b32_e64 v13, v4, v19, s[6:7]
	v_cndmask_b32_e64 v12, v5, v20, s[6:7]
	v_cmp_gt_f64_e64 s[10:11], 0, v[12:13]
	v_cmp_le_f64_e64 s[12:13], 0, v[12:13]
	v_pk_mov_b32 v[10:11], v[12:13], v[12:13] op_sel:[0,1]
	buffer_load_dword v13, off, s[0:3], 0 offset:112 ; 4-byte Folded Reload
	v_cmp_le_f64_e64 s[6:7], 0, v[138:139]
	v_cmp_gt_f64_e64 s[8:9], 0, v[138:139]
	s_and_b64 s[6:7], s[6:7], s[10:11]
	s_and_b64 s[8:9], s[8:9], s[12:13]
	v_cndmask_b32_e64 v8, v8, v14, s[6:7]
	v_cndmask_b32_e64 v125, v125, v14, s[8:9]
	;; [unrolled: 1-line block ×4, first 2 shown]
	s_or_b64 s[16:17], vcc, s[16:17]
	v_mov_b32_e32 v7, v9
	s_andn2_b64 exec, exec, s[16:17]
	s_cbranch_execnz .LBB0_52
; %bb.53:
	s_or_b64 exec, exec, s[16:17]
.LBB0_54:
	s_or_b64 exec, exec, s[14:15]
	v_pk_mov_b32 v[114:115], v[88:89], v[88:89] op_sel:[0,1]
	v_cmp_lt_i32_e64 s[6:7], -1, v124
	v_mov_b32_e32 v0, -1
	v_mov_b32_e32 v126, -1
	;; [unrolled: 1-line block ×3, first 2 shown]
	s_and_saveexec_b64 s[58:59], s[6:7]
	s_cbranch_execz .LBB0_56
; %bb.55:
	buffer_load_dword v22, off, s[0:3], 0 offset:756 ; 4-byte Folded Reload
	buffer_load_dword v23, off, s[0:3], 0 offset:760 ; 4-byte Folded Reload
	;; [unrolled: 1-line block ×32, first 2 shown]
	v_cmp_eq_u32_e64 s[8:9], 1, v8
	v_cndmask_b32_e64 v7, v153, v137, s[8:9]
	v_cmp_eq_u32_e64 s[10:11], 2, v8
	v_cmp_eq_u32_e64 s[12:13], 3, v8
	;; [unrolled: 1-line block ×7, first 2 shown]
	v_cndmask_b32_e64 v8, v152, v136, s[8:9]
	v_cndmask_b32_e64 v7, v7, v159, s[10:11]
	;; [unrolled: 1-line block ×8, first 2 shown]
	v_cmp_eq_u32_e64 s[24:25], 1, v124
	v_cmp_eq_u32_e64 s[26:27], 2, v124
	;; [unrolled: 1-line block ×8, first 2 shown]
	s_waitcnt vmcnt(20)
	v_mov_b32_e32 v83, v33
	buffer_load_dword v22, off, s[0:3], 0 offset:628 ; 4-byte Folded Reload
	buffer_load_dword v23, off, s[0:3], 0 offset:632 ; 4-byte Folded Reload
	buffer_load_dword v24, off, s[0:3], 0 offset:636 ; 4-byte Folded Reload
	buffer_load_dword v25, off, s[0:3], 0 offset:640 ; 4-byte Folded Reload
	buffer_load_dword v26, off, s[0:3], 0 offset:644 ; 4-byte Folded Reload
	buffer_load_dword v27, off, s[0:3], 0 offset:648 ; 4-byte Folded Reload
	buffer_load_dword v28, off, s[0:3], 0 offset:652 ; 4-byte Folded Reload
	buffer_load_dword v29, off, s[0:3], 0 offset:656 ; 4-byte Folded Reload
	buffer_load_dword v30, off, s[0:3], 0 offset:660 ; 4-byte Folded Reload
	buffer_load_dword v31, off, s[0:3], 0 offset:664 ; 4-byte Folded Reload
	buffer_load_dword v32, off, s[0:3], 0 offset:668 ; 4-byte Folded Reload
	buffer_load_dword v33, off, s[0:3], 0 offset:672 ; 4-byte Folded Reload
	buffer_load_dword v34, off, s[0:3], 0 offset:676 ; 4-byte Folded Reload
	buffer_load_dword v35, off, s[0:3], 0 offset:680 ; 4-byte Folded Reload
	buffer_load_dword v36, off, s[0:3], 0 offset:684 ; 4-byte Folded Reload
	buffer_load_dword v37, off, s[0:3], 0 offset:688 ; 4-byte Folded Reload
	buffer_load_dword v38, off, s[0:3], 0 offset:692 ; 4-byte Folded Reload
	buffer_load_dword v39, off, s[0:3], 0 offset:696 ; 4-byte Folded Reload
	buffer_load_dword v40, off, s[0:3], 0 offset:700 ; 4-byte Folded Reload
	buffer_load_dword v41, off, s[0:3], 0 offset:704 ; 4-byte Folded Reload
	buffer_load_dword v42, off, s[0:3], 0 offset:708 ; 4-byte Folded Reload
	buffer_load_dword v43, off, s[0:3], 0 offset:712 ; 4-byte Folded Reload
	buffer_load_dword v44, off, s[0:3], 0 offset:716 ; 4-byte Folded Reload
	buffer_load_dword v45, off, s[0:3], 0 offset:720 ; 4-byte Folded Reload
	buffer_load_dword v46, off, s[0:3], 0 offset:724 ; 4-byte Folded Reload
	buffer_load_dword v47, off, s[0:3], 0 offset:728 ; 4-byte Folded Reload
	buffer_load_dword v48, off, s[0:3], 0 offset:732 ; 4-byte Folded Reload
	buffer_load_dword v49, off, s[0:3], 0 offset:736 ; 4-byte Folded Reload
	buffer_load_dword v50, off, s[0:3], 0 offset:740 ; 4-byte Folded Reload
	buffer_load_dword v51, off, s[0:3], 0 offset:744 ; 4-byte Folded Reload
	buffer_load_dword v52, off, s[0:3], 0 offset:748 ; 4-byte Folded Reload
	buffer_load_dword v53, off, s[0:3], 0 offset:752 ; 4-byte Folded Reload
	v_cndmask_b32_e64 v7, v7, v83, s[16:17]
	s_waitcnt vmcnt(18)
	v_mov_b32_e32 v81, v35
	buffer_load_dword v22, off, s[0:3], 0 offset:500 ; 4-byte Folded Reload
	buffer_load_dword v23, off, s[0:3], 0 offset:504 ; 4-byte Folded Reload
	buffer_load_dword v24, off, s[0:3], 0 offset:508 ; 4-byte Folded Reload
	buffer_load_dword v25, off, s[0:3], 0 offset:512 ; 4-byte Folded Reload
	buffer_load_dword v26, off, s[0:3], 0 offset:516 ; 4-byte Folded Reload
	buffer_load_dword v27, off, s[0:3], 0 offset:520 ; 4-byte Folded Reload
	buffer_load_dword v28, off, s[0:3], 0 offset:524 ; 4-byte Folded Reload
	buffer_load_dword v29, off, s[0:3], 0 offset:528 ; 4-byte Folded Reload
	buffer_load_dword v30, off, s[0:3], 0 offset:532 ; 4-byte Folded Reload
	buffer_load_dword v31, off, s[0:3], 0 offset:536 ; 4-byte Folded Reload
	buffer_load_dword v32, off, s[0:3], 0 offset:540 ; 4-byte Folded Reload
	buffer_load_dword v33, off, s[0:3], 0 offset:544 ; 4-byte Folded Reload
	buffer_load_dword v34, off, s[0:3], 0 offset:548 ; 4-byte Folded Reload
	buffer_load_dword v35, off, s[0:3], 0 offset:552 ; 4-byte Folded Reload
	buffer_load_dword v36, off, s[0:3], 0 offset:556 ; 4-byte Folded Reload
	buffer_load_dword v37, off, s[0:3], 0 offset:560 ; 4-byte Folded Reload
	buffer_load_dword v38, off, s[0:3], 0 offset:564 ; 4-byte Folded Reload
	buffer_load_dword v39, off, s[0:3], 0 offset:568 ; 4-byte Folded Reload
	buffer_load_dword v40, off, s[0:3], 0 offset:572 ; 4-byte Folded Reload
	buffer_load_dword v41, off, s[0:3], 0 offset:576 ; 4-byte Folded Reload
	buffer_load_dword v42, off, s[0:3], 0 offset:580 ; 4-byte Folded Reload
	buffer_load_dword v43, off, s[0:3], 0 offset:584 ; 4-byte Folded Reload
	buffer_load_dword v44, off, s[0:3], 0 offset:588 ; 4-byte Folded Reload
	buffer_load_dword v45, off, s[0:3], 0 offset:592 ; 4-byte Folded Reload
	buffer_load_dword v46, off, s[0:3], 0 offset:596 ; 4-byte Folded Reload
	buffer_load_dword v47, off, s[0:3], 0 offset:600 ; 4-byte Folded Reload
	buffer_load_dword v48, off, s[0:3], 0 offset:604 ; 4-byte Folded Reload
	buffer_load_dword v49, off, s[0:3], 0 offset:608 ; 4-byte Folded Reload
	buffer_load_dword v50, off, s[0:3], 0 offset:612 ; 4-byte Folded Reload
	buffer_load_dword v51, off, s[0:3], 0 offset:616 ; 4-byte Folded Reload
	buffer_load_dword v52, off, s[0:3], 0 offset:620 ; 4-byte Folded Reload
	buffer_load_dword v53, off, s[0:3], 0 offset:624 ; 4-byte Folded Reload
	v_cndmask_b32_e64 v7, v7, v81, s[18:19]
	;; [unrolled: 35-line block ×3, first 2 shown]
	s_waitcnt vmcnt(19)
	v_mov_b32_e32 v80, v34
	buffer_load_dword v22, off, s[0:3], 0 offset:1012 ; 4-byte Folded Reload
	buffer_load_dword v23, off, s[0:3], 0 offset:1016 ; 4-byte Folded Reload
	;; [unrolled: 1-line block ×64, first 2 shown]
	v_cndmask_b32_e64 v8, v8, v80, s[18:19]
	s_waitcnt vmcnt(49)
	v_mov_b32_e32 v78, v36
	buffer_load_dword v22, off, s[0:3], 0 offset:884 ; 4-byte Folded Reload
	buffer_load_dword v23, off, s[0:3], 0 offset:888 ; 4-byte Folded Reload
	;; [unrolled: 1-line block ×32, first 2 shown]
	v_cndmask_b32_e64 v8, v8, v78, s[20:21]
	s_waitcnt vmcnt(32)
	v_mov_b32_e32 v75, v61
	v_cndmask_b32_e64 v143, v7, v75, s[22:23]
	v_cndmask_b32_e64 v7, v153, v137, s[24:25]
	;; [unrolled: 1-line block ×11, first 2 shown]
	s_waitcnt vmcnt(15)
	v_mov_b32_e32 v74, v38
	v_cndmask_b32_e64 v142, v8, v74, s[22:23]
	v_cndmask_b32_e64 v8, v152, v136, s[24:25]
	;; [unrolled: 1-line block ×9, first 2 shown]
	v_add_f64 v[8:9], -v[142:143], 0
	v_add_f64 v[10:11], v[64:65], -v[142:143]
	v_div_scale_f64 v[22:23], s[42:43], v[10:11], v[10:11], v[8:9]
	v_rcp_f64_e32 v[24:25], v[22:23]
	v_fma_f64 v[26:27], -v[22:23], v[24:25], 1.0
	v_fmac_f64_e32 v[24:25], v[24:25], v[26:27]
	v_fma_f64 v[26:27], -v[22:23], v[24:25], 1.0
	v_fmac_f64_e32 v[24:25], v[24:25], v[26:27]
	v_div_scale_f64 v[26:27], vcc, v[8:9], v[10:11], v[8:9]
	v_mul_f64 v[28:29], v[26:27], v[24:25]
	v_fma_f64 v[22:23], -v[22:23], v[28:29], v[26:27]
	s_nop 1
	v_div_fmas_f64 v[22:23], v[22:23], v[24:25], v[28:29]
	buffer_load_dword v24, off, s[0:3], 0 offset:116 ; 4-byte Folded Reload
	buffer_load_dword v25, off, s[0:3], 0 offset:120 ; 4-byte Folded Reload
	;; [unrolled: 1-line block ×64, first 2 shown]
	v_div_fixup_f64 v[70:71], v[22:23], v[10:11], v[8:9]
	v_cndmask_b32_e64 v10, v110, v102, s[24:25]
	v_cndmask_b32_e64 v10, v10, v108, s[26:27]
	v_add_f64 v[144:145], -v[70:71], 1.0
	s_waitcnt vmcnt(56)
	v_cndmask_b32_e64 v7, v7, v31, s[28:29]
	s_waitcnt vmcnt(20)
	v_mov_b32_e32 v19, v43
	buffer_load_dword v32, off, s[0:3], 0 offset:2548 ; 4-byte Folded Reload
	buffer_load_dword v33, off, s[0:3], 0 offset:2552 ; 4-byte Folded Reload
	;; [unrolled: 1-line block ×32, first 2 shown]
	v_cndmask_b32_e64 v10, v10, v30, s[28:29]
	v_cndmask_b32_e64 v7, v7, v117, s[30:31]
	;; [unrolled: 1-line block ×4, first 2 shown]
	s_waitcnt vmcnt(18)
	v_mov_b32_e32 v13, v45
	buffer_load_dword v32, off, s[0:3], 0 offset:2420 ; 4-byte Folded Reload
	buffer_load_dword v33, off, s[0:3], 0 offset:2424 ; 4-byte Folded Reload
	buffer_load_dword v34, off, s[0:3], 0 offset:2428 ; 4-byte Folded Reload
	buffer_load_dword v35, off, s[0:3], 0 offset:2432 ; 4-byte Folded Reload
	buffer_load_dword v36, off, s[0:3], 0 offset:2436 ; 4-byte Folded Reload
	buffer_load_dword v37, off, s[0:3], 0 offset:2440 ; 4-byte Folded Reload
	buffer_load_dword v38, off, s[0:3], 0 offset:2444 ; 4-byte Folded Reload
	buffer_load_dword v39, off, s[0:3], 0 offset:2448 ; 4-byte Folded Reload
	buffer_load_dword v40, off, s[0:3], 0 offset:2452 ; 4-byte Folded Reload
	buffer_load_dword v41, off, s[0:3], 0 offset:2456 ; 4-byte Folded Reload
	buffer_load_dword v42, off, s[0:3], 0 offset:2460 ; 4-byte Folded Reload
	buffer_load_dword v43, off, s[0:3], 0 offset:2464 ; 4-byte Folded Reload
	buffer_load_dword v44, off, s[0:3], 0 offset:2468 ; 4-byte Folded Reload
	buffer_load_dword v45, off, s[0:3], 0 offset:2472 ; 4-byte Folded Reload
	buffer_load_dword v46, off, s[0:3], 0 offset:2476 ; 4-byte Folded Reload
	buffer_load_dword v47, off, s[0:3], 0 offset:2480 ; 4-byte Folded Reload
	buffer_load_dword v48, off, s[0:3], 0 offset:2484 ; 4-byte Folded Reload
	buffer_load_dword v49, off, s[0:3], 0 offset:2488 ; 4-byte Folded Reload
	buffer_load_dword v50, off, s[0:3], 0 offset:2492 ; 4-byte Folded Reload
	buffer_load_dword v51, off, s[0:3], 0 offset:2496 ; 4-byte Folded Reload
	buffer_load_dword v52, off, s[0:3], 0 offset:2500 ; 4-byte Folded Reload
	buffer_load_dword v53, off, s[0:3], 0 offset:2504 ; 4-byte Folded Reload
	buffer_load_dword v54, off, s[0:3], 0 offset:2508 ; 4-byte Folded Reload
	buffer_load_dword v55, off, s[0:3], 0 offset:2512 ; 4-byte Folded Reload
	buffer_load_dword v56, off, s[0:3], 0 offset:2516 ; 4-byte Folded Reload
	buffer_load_dword v57, off, s[0:3], 0 offset:2520 ; 4-byte Folded Reload
	buffer_load_dword v58, off, s[0:3], 0 offset:2524 ; 4-byte Folded Reload
	buffer_load_dword v59, off, s[0:3], 0 offset:2528 ; 4-byte Folded Reload
	buffer_load_dword v60, off, s[0:3], 0 offset:2532 ; 4-byte Folded Reload
	buffer_load_dword v61, off, s[0:3], 0 offset:2536 ; 4-byte Folded Reload
	buffer_load_dword v62, off, s[0:3], 0 offset:2540 ; 4-byte Folded Reload
	buffer_load_dword v63, off, s[0:3], 0 offset:2544 ; 4-byte Folded Reload
	v_cndmask_b32_e64 v7, v7, v13, s[36:37]
	s_waitcnt vmcnt(16)
	v_mov_b32_e32 v15, v47
	buffer_load_dword v32, off, s[0:3], 0 offset:3188 ; 4-byte Folded Reload
	buffer_load_dword v33, off, s[0:3], 0 offset:3192 ; 4-byte Folded Reload
	buffer_load_dword v34, off, s[0:3], 0 offset:3196 ; 4-byte Folded Reload
	buffer_load_dword v35, off, s[0:3], 0 offset:3200 ; 4-byte Folded Reload
	buffer_load_dword v36, off, s[0:3], 0 offset:3204 ; 4-byte Folded Reload
	buffer_load_dword v37, off, s[0:3], 0 offset:3208 ; 4-byte Folded Reload
	buffer_load_dword v38, off, s[0:3], 0 offset:3212 ; 4-byte Folded Reload
	buffer_load_dword v39, off, s[0:3], 0 offset:3216 ; 4-byte Folded Reload
	buffer_load_dword v40, off, s[0:3], 0 offset:3220 ; 4-byte Folded Reload
	buffer_load_dword v41, off, s[0:3], 0 offset:3224 ; 4-byte Folded Reload
	buffer_load_dword v42, off, s[0:3], 0 offset:3228 ; 4-byte Folded Reload
	buffer_load_dword v43, off, s[0:3], 0 offset:3232 ; 4-byte Folded Reload
	buffer_load_dword v44, off, s[0:3], 0 offset:3236 ; 4-byte Folded Reload
	buffer_load_dword v45, off, s[0:3], 0 offset:3240 ; 4-byte Folded Reload
	buffer_load_dword v46, off, s[0:3], 0 offset:3244 ; 4-byte Folded Reload
	buffer_load_dword v47, off, s[0:3], 0 offset:3248 ; 4-byte Folded Reload
	buffer_load_dword v48, off, s[0:3], 0 offset:3252 ; 4-byte Folded Reload
	buffer_load_dword v49, off, s[0:3], 0 offset:3256 ; 4-byte Folded Reload
	buffer_load_dword v50, off, s[0:3], 0 offset:3260 ; 4-byte Folded Reload
	buffer_load_dword v51, off, s[0:3], 0 offset:3264 ; 4-byte Folded Reload
	buffer_load_dword v52, off, s[0:3], 0 offset:3268 ; 4-byte Folded Reload
	buffer_load_dword v53, off, s[0:3], 0 offset:3272 ; 4-byte Folded Reload
	buffer_load_dword v54, off, s[0:3], 0 offset:3276 ; 4-byte Folded Reload
	buffer_load_dword v55, off, s[0:3], 0 offset:3280 ; 4-byte Folded Reload
	buffer_load_dword v56, off, s[0:3], 0 offset:3284 ; 4-byte Folded Reload
	buffer_load_dword v57, off, s[0:3], 0 offset:3288 ; 4-byte Folded Reload
	buffer_load_dword v58, off, s[0:3], 0 offset:3292 ; 4-byte Folded Reload
	buffer_load_dword v59, off, s[0:3], 0 offset:3296 ; 4-byte Folded Reload
	buffer_load_dword v60, off, s[0:3], 0 offset:3300 ; 4-byte Folded Reload
	buffer_load_dword v61, off, s[0:3], 0 offset:3304 ; 4-byte Folded Reload
	buffer_load_dword v62, off, s[0:3], 0 offset:3308 ; 4-byte Folded Reload
	buffer_load_dword v63, off, s[0:3], 0 offset:3312 ; 4-byte Folded Reload
	v_cndmask_b32_e64 v7, v7, v15, s[38:39]
	;; [unrolled: 35-line block ×5, first 2 shown]
	s_waitcnt vmcnt(14)
	v_mov_b32_e32 v17, v49
	buffer_load_dword v32, off, s[0:3], 0 offset:2804 ; 4-byte Folded Reload
	buffer_load_dword v33, off, s[0:3], 0 offset:2808 ; 4-byte Folded Reload
	buffer_load_dword v34, off, s[0:3], 0 offset:2812 ; 4-byte Folded Reload
	buffer_load_dword v35, off, s[0:3], 0 offset:2816 ; 4-byte Folded Reload
	buffer_load_dword v36, off, s[0:3], 0 offset:2820 ; 4-byte Folded Reload
	buffer_load_dword v37, off, s[0:3], 0 offset:2824 ; 4-byte Folded Reload
	buffer_load_dword v38, off, s[0:3], 0 offset:2828 ; 4-byte Folded Reload
	buffer_load_dword v39, off, s[0:3], 0 offset:2832 ; 4-byte Folded Reload
	buffer_load_dword v40, off, s[0:3], 0 offset:2836 ; 4-byte Folded Reload
	buffer_load_dword v41, off, s[0:3], 0 offset:2840 ; 4-byte Folded Reload
	buffer_load_dword v42, off, s[0:3], 0 offset:2844 ; 4-byte Folded Reload
	buffer_load_dword v43, off, s[0:3], 0 offset:2848 ; 4-byte Folded Reload
	buffer_load_dword v44, off, s[0:3], 0 offset:2852 ; 4-byte Folded Reload
	buffer_load_dword v45, off, s[0:3], 0 offset:2856 ; 4-byte Folded Reload
	buffer_load_dword v46, off, s[0:3], 0 offset:2860 ; 4-byte Folded Reload
	buffer_load_dword v47, off, s[0:3], 0 offset:2864 ; 4-byte Folded Reload
	buffer_load_dword v48, off, s[0:3], 0 offset:2868 ; 4-byte Folded Reload
	buffer_load_dword v49, off, s[0:3], 0 offset:2872 ; 4-byte Folded Reload
	buffer_load_dword v50, off, s[0:3], 0 offset:2876 ; 4-byte Folded Reload
	buffer_load_dword v51, off, s[0:3], 0 offset:2880 ; 4-byte Folded Reload
	buffer_load_dword v52, off, s[0:3], 0 offset:2884 ; 4-byte Folded Reload
	buffer_load_dword v53, off, s[0:3], 0 offset:2888 ; 4-byte Folded Reload
	buffer_load_dword v54, off, s[0:3], 0 offset:2892 ; 4-byte Folded Reload
	buffer_load_dword v55, off, s[0:3], 0 offset:2896 ; 4-byte Folded Reload
	buffer_load_dword v56, off, s[0:3], 0 offset:2900 ; 4-byte Folded Reload
	buffer_load_dword v57, off, s[0:3], 0 offset:2904 ; 4-byte Folded Reload
	buffer_load_dword v58, off, s[0:3], 0 offset:2908 ; 4-byte Folded Reload
	buffer_load_dword v59, off, s[0:3], 0 offset:2912 ; 4-byte Folded Reload
	buffer_load_dword v60, off, s[0:3], 0 offset:2916 ; 4-byte Folded Reload
	buffer_load_dword v61, off, s[0:3], 0 offset:2920 ; 4-byte Folded Reload
	buffer_load_dword v62, off, s[0:3], 0 offset:2924 ; 4-byte Folded Reload
	buffer_load_dword v63, off, s[0:3], 0 offset:2928 ; 4-byte Folded Reload
	buffer_load_dword v126, off, s[0:3], 0 offset:100
	v_cndmask_b32_e64 v23, v7, v17, s[40:41]
	v_cndmask_b32_e64 v7, v111, v103, s[8:9]
	;; [unrolled: 1-line block ×10, first 2 shown]
	s_waitcnt vmcnt(16)
	v_mov_b32_e32 v16, v48
	v_cndmask_b32_e64 v22, v10, v16, s[40:41]
	v_cndmask_b32_e64 v10, v110, v102, s[8:9]
	v_cndmask_b32_e64 v10, v10, v108, s[10:11]
	v_cndmask_b32_e64 v10, v10, v30, s[12:13]
	v_cndmask_b32_e64 v10, v10, v116, s[14:15]
	v_cndmask_b32_e64 v10, v10, v18, s[16:17]
	v_cndmask_b32_e64 v10, v10, v12, s[18:19]
	v_cndmask_b32_e64 v10, v10, v14, s[20:21]
	v_cndmask_b32_e64 v10, v10, v16, s[22:23]
	v_mul_f64 v[72:73], v[10:11], v[144:145]
	v_fmac_f64_e32 v[72:73], v[22:23], v[70:71]
	s_waitcnt vmcnt(0)
	v_cmp_eq_u32_e64 s[44:45], 8, v126
	v_cndmask_b32_e64 v0, v16, v72, s[44:45]
	v_cmp_eq_u32_e64 s[46:47], 7, v126
	buffer_store_dword v0, off, s[0:3], 0 offset:2804 ; 4-byte Folded Spill
	v_cndmask_b32_e64 v0, v14, v72, s[46:47]
	v_cmp_eq_u32_e64 s[48:49], 6, v126
	buffer_store_dword v0, off, s[0:3], 0 offset:2932 ; 4-byte Folded Spill
	v_cndmask_b32_e64 v0, v12, v72, s[48:49]
	v_cmp_eq_u32_e64 s[50:51], 5, v126
	buffer_store_dword v0, off, s[0:3], 0 offset:3060 ; 4-byte Folded Spill
	v_cndmask_b32_e64 v0, v18, v72, s[50:51]
	buffer_store_dword v0, off, s[0:3], 0 offset:3188 ; 4-byte Folded Spill
	v_cmp_eq_u32_e64 s[42:43], 3, v126
	v_cndmask_b32_e64 v86, v30, v72, s[42:43]
	v_cndmask_b32_e64 v87, v31, v73, s[42:43]
	buffer_load_dword v26, off, s[0:3], 0 offset:244 ; 4-byte Folded Reload
	buffer_load_dword v27, off, s[0:3], 0 offset:248 ; 4-byte Folded Reload
	;; [unrolled: 1-line block ×32, first 2 shown]
	v_cndmask_b32_e64 v167, v17, v73, s[44:45]
	v_cndmask_b32_e64 v131, v15, v73, s[46:47]
	;; [unrolled: 1-line block ×4, first 2 shown]
	v_cmp_eq_u32_e32 vcc, 4, v126
	v_cndmask_b32_e32 v84, v116, v72, vcc
	v_cndmask_b32_e32 v85, v117, v73, vcc
	v_pk_mov_b32 v[116:117], v[114:115], v[114:115] op_sel:[0,1]
	v_cndmask_b32_e64 v7, v7, v117, s[26:27]
	v_cndmask_b32_e64 v7, v7, v121, s[28:29]
	v_mul_f64 v[114:115], v[142:143], v[144:145]
	v_fmac_f64_e32 v[114:115], v[64:65], v[70:71]
	v_cndmask_b32_e32 v166, v77, v115, vcc
	v_cndmask_b32_e64 v154, v75, v115, s[44:45]
	v_cndmask_b32_e64 v142, v80, v114, s[48:49]
	;; [unrolled: 1-line block ×9, first 2 shown]
	v_cndmask_b32_e32 v157, v76, v114, vcc
	v_cndmask_b32_e64 v112, v112, v114, s[50:51]
	s_waitcnt vmcnt(22)
	v_pk_mov_b32 v[88:89], v[34:35], v[34:35] op_sel:[0,1]
	buffer_load_dword v10, off, s[0:3], 0 offset:1652 ; 4-byte Folded Reload
	buffer_load_dword v11, off, s[0:3], 0 offset:1656 ; 4-byte Folded Reload
	buffer_load_dword v12, off, s[0:3], 0 offset:1660 ; 4-byte Folded Reload
	buffer_load_dword v13, off, s[0:3], 0 offset:1664 ; 4-byte Folded Reload
	buffer_load_dword v14, off, s[0:3], 0 offset:1668 ; 4-byte Folded Reload
	buffer_load_dword v15, off, s[0:3], 0 offset:1672 ; 4-byte Folded Reload
	buffer_load_dword v16, off, s[0:3], 0 offset:1676 ; 4-byte Folded Reload
	buffer_load_dword v17, off, s[0:3], 0 offset:1680 ; 4-byte Folded Reload
	buffer_load_dword v18, off, s[0:3], 0 offset:1684 ; 4-byte Folded Reload
	buffer_load_dword v19, off, s[0:3], 0 offset:1688 ; 4-byte Folded Reload
	buffer_load_dword v20, off, s[0:3], 0 offset:1692 ; 4-byte Folded Reload
	buffer_load_dword v21, off, s[0:3], 0 offset:1696 ; 4-byte Folded Reload
	buffer_load_dword v22, off, s[0:3], 0 offset:1700 ; 4-byte Folded Reload
	buffer_load_dword v23, off, s[0:3], 0 offset:1704 ; 4-byte Folded Reload
	buffer_load_dword v24, off, s[0:3], 0 offset:1708 ; 4-byte Folded Reload
	buffer_load_dword v25, off, s[0:3], 0 offset:1712 ; 4-byte Folded Reload
	buffer_load_dword v26, off, s[0:3], 0 offset:1716 ; 4-byte Folded Reload
	buffer_load_dword v27, off, s[0:3], 0 offset:1720 ; 4-byte Folded Reload
	buffer_load_dword v28, off, s[0:3], 0 offset:1724 ; 4-byte Folded Reload
	buffer_load_dword v29, off, s[0:3], 0 offset:1728 ; 4-byte Folded Reload
	buffer_load_dword v30, off, s[0:3], 0 offset:1732 ; 4-byte Folded Reload
	buffer_load_dword v31, off, s[0:3], 0 offset:1736 ; 4-byte Folded Reload
	buffer_load_dword v32, off, s[0:3], 0 offset:1740 ; 4-byte Folded Reload
	buffer_load_dword v33, off, s[0:3], 0 offset:1744 ; 4-byte Folded Reload
	buffer_load_dword v34, off, s[0:3], 0 offset:1748 ; 4-byte Folded Reload
	buffer_load_dword v35, off, s[0:3], 0 offset:1752 ; 4-byte Folded Reload
	buffer_load_dword v36, off, s[0:3], 0 offset:1756 ; 4-byte Folded Reload
	buffer_load_dword v37, off, s[0:3], 0 offset:1760 ; 4-byte Folded Reload
	buffer_load_dword v38, off, s[0:3], 0 offset:1764 ; 4-byte Folded Reload
	buffer_load_dword v39, off, s[0:3], 0 offset:1768 ; 4-byte Folded Reload
	buffer_load_dword v40, off, s[0:3], 0 offset:1772 ; 4-byte Folded Reload
	buffer_load_dword v41, off, s[0:3], 0 offset:1776 ; 4-byte Folded Reload
	v_cndmask_b32_e64 v7, v7, v89, s[30:31]
	s_waitcnt vmcnt(20)
	v_mov_b32_e32 v91, v21
	buffer_load_dword v10, off, s[0:3], 0 offset:1524 ; 4-byte Folded Reload
	buffer_load_dword v11, off, s[0:3], 0 offset:1528 ; 4-byte Folded Reload
	;; [unrolled: 1-line block ×32, first 2 shown]
	v_cndmask_b32_e64 v7, v7, v91, s[34:35]
	s_waitcnt vmcnt(18)
	v_mov_b32_e32 v93, v23
	buffer_load_dword v10, off, s[0:3], 0 offset:1396 ; 4-byte Folded Reload
	buffer_load_dword v11, off, s[0:3], 0 offset:1400 ; 4-byte Folded Reload
	;; [unrolled: 1-line block ×32, first 2 shown]
	s_waitcnt vmcnt(20)
	v_cndmask_b32_e64 v21, v106, v104, s[24:25]
	v_cndmask_b32_e64 v21, v21, v116, s[26:27]
	;; [unrolled: 1-line block ×5, first 2 shown]
	s_waitcnt vmcnt(16)
	v_mov_b32_e32 v95, v25
	buffer_load_dword v22, off, s[0:3], 0 offset:2164 ; 4-byte Folded Reload
	buffer_load_dword v23, off, s[0:3], 0 offset:2168 ; 4-byte Folded Reload
	buffer_load_dword v24, off, s[0:3], 0 offset:2172 ; 4-byte Folded Reload
	buffer_load_dword v25, off, s[0:3], 0 offset:2176 ; 4-byte Folded Reload
	buffer_load_dword v26, off, s[0:3], 0 offset:2180 ; 4-byte Folded Reload
	buffer_load_dword v27, off, s[0:3], 0 offset:2184 ; 4-byte Folded Reload
	buffer_load_dword v28, off, s[0:3], 0 offset:2188 ; 4-byte Folded Reload
	buffer_load_dword v29, off, s[0:3], 0 offset:2192 ; 4-byte Folded Reload
	buffer_load_dword v30, off, s[0:3], 0 offset:2196 ; 4-byte Folded Reload
	buffer_load_dword v31, off, s[0:3], 0 offset:2200 ; 4-byte Folded Reload
	buffer_load_dword v32, off, s[0:3], 0 offset:2204 ; 4-byte Folded Reload
	buffer_load_dword v33, off, s[0:3], 0 offset:2208 ; 4-byte Folded Reload
	buffer_load_dword v34, off, s[0:3], 0 offset:2212 ; 4-byte Folded Reload
	buffer_load_dword v35, off, s[0:3], 0 offset:2216 ; 4-byte Folded Reload
	buffer_load_dword v36, off, s[0:3], 0 offset:2220 ; 4-byte Folded Reload
	buffer_load_dword v37, off, s[0:3], 0 offset:2224 ; 4-byte Folded Reload
	buffer_load_dword v38, off, s[0:3], 0 offset:2228 ; 4-byte Folded Reload
	buffer_load_dword v39, off, s[0:3], 0 offset:2232 ; 4-byte Folded Reload
	buffer_load_dword v40, off, s[0:3], 0 offset:2236 ; 4-byte Folded Reload
	buffer_load_dword v41, off, s[0:3], 0 offset:2240 ; 4-byte Folded Reload
	buffer_load_dword v42, off, s[0:3], 0 offset:2244 ; 4-byte Folded Reload
	buffer_load_dword v43, off, s[0:3], 0 offset:2248 ; 4-byte Folded Reload
	buffer_load_dword v44, off, s[0:3], 0 offset:2252 ; 4-byte Folded Reload
	buffer_load_dword v45, off, s[0:3], 0 offset:2256 ; 4-byte Folded Reload
	buffer_load_dword v46, off, s[0:3], 0 offset:2260 ; 4-byte Folded Reload
	buffer_load_dword v47, off, s[0:3], 0 offset:2264 ; 4-byte Folded Reload
	buffer_load_dword v48, off, s[0:3], 0 offset:2268 ; 4-byte Folded Reload
	buffer_load_dword v49, off, s[0:3], 0 offset:2272 ; 4-byte Folded Reload
	buffer_load_dword v50, off, s[0:3], 0 offset:2276 ; 4-byte Folded Reload
	buffer_load_dword v51, off, s[0:3], 0 offset:2280 ; 4-byte Folded Reload
	buffer_load_dword v52, off, s[0:3], 0 offset:2284 ; 4-byte Folded Reload
	buffer_load_dword v53, off, s[0:3], 0 offset:2288 ; 4-byte Folded Reload
	v_cndmask_b32_e64 v7, v7, v95, s[38:39]
	s_waitcnt vmcnt(21)
	v_mov_b32_e32 v68, v32
	buffer_load_dword v22, off, s[0:3], 0 offset:2036 ; 4-byte Folded Reload
	buffer_load_dword v23, off, s[0:3], 0 offset:2040 ; 4-byte Folded Reload
	buffer_load_dword v24, off, s[0:3], 0 offset:2044 ; 4-byte Folded Reload
	buffer_load_dword v25, off, s[0:3], 0 offset:2048 ; 4-byte Folded Reload
	buffer_load_dword v26, off, s[0:3], 0 offset:2052 ; 4-byte Folded Reload
	buffer_load_dword v27, off, s[0:3], 0 offset:2056 ; 4-byte Folded Reload
	buffer_load_dword v28, off, s[0:3], 0 offset:2060 ; 4-byte Folded Reload
	buffer_load_dword v29, off, s[0:3], 0 offset:2064 ; 4-byte Folded Reload
	buffer_load_dword v30, off, s[0:3], 0 offset:2068 ; 4-byte Folded Reload
	buffer_load_dword v31, off, s[0:3], 0 offset:2072 ; 4-byte Folded Reload
	buffer_load_dword v32, off, s[0:3], 0 offset:2076 ; 4-byte Folded Reload
	buffer_load_dword v33, off, s[0:3], 0 offset:2080 ; 4-byte Folded Reload
	buffer_load_dword v34, off, s[0:3], 0 offset:2084 ; 4-byte Folded Reload
	buffer_load_dword v35, off, s[0:3], 0 offset:2088 ; 4-byte Folded Reload
	buffer_load_dword v36, off, s[0:3], 0 offset:2092 ; 4-byte Folded Reload
	buffer_load_dword v37, off, s[0:3], 0 offset:2096 ; 4-byte Folded Reload
	buffer_load_dword v38, off, s[0:3], 0 offset:2100 ; 4-byte Folded Reload
	buffer_load_dword v39, off, s[0:3], 0 offset:2104 ; 4-byte Folded Reload
	buffer_load_dword v40, off, s[0:3], 0 offset:2108 ; 4-byte Folded Reload
	buffer_load_dword v41, off, s[0:3], 0 offset:2112 ; 4-byte Folded Reload
	buffer_load_dword v42, off, s[0:3], 0 offset:2116 ; 4-byte Folded Reload
	buffer_load_dword v43, off, s[0:3], 0 offset:2120 ; 4-byte Folded Reload
	buffer_load_dword v44, off, s[0:3], 0 offset:2124 ; 4-byte Folded Reload
	buffer_load_dword v45, off, s[0:3], 0 offset:2128 ; 4-byte Folded Reload
	buffer_load_dword v46, off, s[0:3], 0 offset:2132 ; 4-byte Folded Reload
	buffer_load_dword v47, off, s[0:3], 0 offset:2136 ; 4-byte Folded Reload
	buffer_load_dword v48, off, s[0:3], 0 offset:2140 ; 4-byte Folded Reload
	buffer_load_dword v49, off, s[0:3], 0 offset:2144 ; 4-byte Folded Reload
	buffer_load_dword v50, off, s[0:3], 0 offset:2148 ; 4-byte Folded Reload
	buffer_load_dword v51, off, s[0:3], 0 offset:2152 ; 4-byte Folded Reload
	buffer_load_dword v52, off, s[0:3], 0 offset:2156 ; 4-byte Folded Reload
	buffer_load_dword v53, off, s[0:3], 0 offset:2160 ; 4-byte Folded Reload
	v_cndmask_b32_e64 v21, v21, v68, s[34:35]
	;; [unrolled: 35-line block ×3, first 2 shown]
	s_waitcnt vmcnt(17)
	v_cndmask_b32_e64 v44, v21, v46, s[38:39]
	buffer_load_dword v10, off, s[0:3], 0 offset:1268 ; 4-byte Folded Reload
	buffer_load_dword v11, off, s[0:3], 0 offset:1272 ; 4-byte Folded Reload
	;; [unrolled: 1-line block ×32, first 2 shown]
	s_waitcnt vmcnt(6)
	v_mov_b32_e32 v35, v27
	s_waitcnt vmcnt(4)
	v_cndmask_b32_e64 v37, v7, v35, s[40:41]
	buffer_load_dword v0, off, s[0:3], 0 offset:1780 ; 4-byte Folded Reload
	buffer_load_dword v1, off, s[0:3], 0 offset:1784 ; 4-byte Folded Reload
	;; [unrolled: 1-line block ×32, first 2 shown]
	s_waitcnt vmcnt(24)
	v_cndmask_b32_e64 v7, v107, v105, s[8:9]
	s_waitcnt vmcnt(10)
	v_cndmask_b32_e64 v21, v106, v104, s[8:9]
	v_cndmask_b32_e64 v7, v7, v117, s[10:11]
	;; [unrolled: 1-line block ×16, first 2 shown]
	s_mov_b32 s8, 0x41d00
	v_cndmask_b32_e64 v7, v7, v165, s[10:11]
	v_cndmask_b32_e64 v12, v12, v164, s[10:11]
	;; [unrolled: 1-line block ×6, first 2 shown]
	v_cmp_eq_u32_e64 s[10:11], 2, v96
	v_cmp_eq_u32_e64 s[12:13], 3, v96
	;; [unrolled: 1-line block ×3, first 2 shown]
	v_cndmask_b32_e64 v32, v21, v16, s[22:23]
	v_cndmask_b32_e64 v36, v44, v16, s[40:41]
	v_mul_f64 v[128:129], v[32:33], v[144:145]
	v_fmac_f64_e32 v[128:129], v[36:37], v[70:71]
	v_cndmask_b32_e64 v98, v46, v128, s[46:47]
	v_cndmask_b32_e64 v141, v66, v128, s[48:49]
	;; [unrolled: 1-line block ×3, first 2 shown]
	buffer_load_dword v38, off, s[0:3], 0 offset:3828 ; 4-byte Folded Reload
	buffer_load_dword v39, off, s[0:3], 0 offset:3832 ; 4-byte Folded Reload
	;; [unrolled: 1-line block ×32, first 2 shown]
	v_cndmask_b32_e64 v99, v16, v128, s[44:45]
	v_cndmask_b32_e64 v147, v35, v129, s[44:45]
	;; [unrolled: 1-line block ×4, first 2 shown]
	v_cndmask_b32_e32 v155, v88, v128, vcc
	v_cndmask_b32_e32 v156, v89, v129, vcc
	v_cndmask_b32_e64 v120, v120, v128, s[42:43]
	v_cndmask_b32_e64 v121, v121, v129, s[42:43]
	;; [unrolled: 1-line block ×3, first 2 shown]
	s_waitcnt vmcnt(20)
	v_mov_b32_e32 v77, v49
	buffer_load_dword v38, off, s[0:3], 0 offset:3700 ; 4-byte Folded Reload
	buffer_load_dword v39, off, s[0:3], 0 offset:3704 ; 4-byte Folded Reload
	;; [unrolled: 1-line block ×32, first 2 shown]
	v_cndmask_b32_e64 v7, v7, v77, s[16:17]
	s_waitcnt vmcnt(18)
	v_mov_b32_e32 v75, v51
	buffer_load_dword v38, off, s[0:3], 0 offset:3572 ; 4-byte Folded Reload
	buffer_load_dword v39, off, s[0:3], 0 offset:3576 ; 4-byte Folded Reload
	;; [unrolled: 1-line block ×32, first 2 shown]
	buffer_load_dword v14, off, s[0:3], s8  ; 4-byte Folded Reload
	buffer_load_dword v15, off, s[0:3], s8 offset:4 ; 4-byte Folded Reload
	buffer_load_dword v16, off, s[0:3], s8 offset:8 ; 4-byte Folded Reload
	buffer_load_dword v17, off, s[0:3], s8 offset:12 ; 4-byte Folded Reload
	buffer_load_dword v18, off, s[0:3], s8 offset:16 ; 4-byte Folded Reload
	buffer_load_dword v19, off, s[0:3], s8 offset:20 ; 4-byte Folded Reload
	buffer_load_dword v20, off, s[0:3], s8 offset:24 ; 4-byte Folded Reload
	buffer_load_dword v21, off, s[0:3], s8 offset:28 ; 4-byte Folded Reload
	buffer_load_dword v22, off, s[0:3], s8 offset:32 ; 4-byte Folded Reload
	buffer_load_dword v23, off, s[0:3], s8 offset:36 ; 4-byte Folded Reload
	buffer_load_dword v24, off, s[0:3], s8 offset:40 ; 4-byte Folded Reload
	buffer_load_dword v25, off, s[0:3], s8 offset:44 ; 4-byte Folded Reload
	buffer_load_dword v26, off, s[0:3], s8 offset:48 ; 4-byte Folded Reload
	buffer_load_dword v27, off, s[0:3], s8 offset:52 ; 4-byte Folded Reload
	buffer_load_dword v28, off, s[0:3], s8 offset:56 ; 4-byte Folded Reload
	buffer_load_dword v29, off, s[0:3], s8 offset:60 ; 4-byte Folded Reload
	buffer_load_dword v30, off, s[0:3], s8 offset:64 ; 4-byte Folded Reload
	buffer_load_dword v31, off, s[0:3], s8 offset:68 ; 4-byte Folded Reload
	buffer_load_dword v32, off, s[0:3], s8 offset:72 ; 4-byte Folded Reload
	buffer_load_dword v33, off, s[0:3], s8 offset:76 ; 4-byte Folded Reload
	buffer_load_dword v34, off, s[0:3], s8 offset:80 ; 4-byte Folded Reload
	buffer_load_dword v35, off, s[0:3], s8 offset:84 ; 4-byte Folded Reload
	buffer_load_dword v36, off, s[0:3], s8 offset:88 ; 4-byte Folded Reload
	buffer_load_dword v37, off, s[0:3], s8 offset:92 ; 4-byte Folded Reload
	buffer_load_dword v38, off, s[0:3], s8 offset:96 ; 4-byte Folded Reload
	buffer_load_dword v39, off, s[0:3], s8 offset:100 ; 4-byte Folded Reload
	buffer_load_dword v40, off, s[0:3], s8 offset:104 ; 4-byte Folded Reload
	buffer_load_dword v41, off, s[0:3], s8 offset:108 ; 4-byte Folded Reload
	buffer_load_dword v42, off, s[0:3], s8 offset:112 ; 4-byte Folded Reload
	buffer_load_dword v43, off, s[0:3], s8 offset:116 ; 4-byte Folded Reload
	buffer_load_dword v44, off, s[0:3], s8 offset:120 ; 4-byte Folded Reload
	buffer_load_dword v45, off, s[0:3], s8 offset:124 ; 4-byte Folded Reload
	s_mov_b32 s8, 0x3fd00
	v_cndmask_b32_e64 v7, v7, v75, s[18:19]
	s_waitcnt vmcnt(40)
	v_mov_b32_e32 v61, v53
	s_waitcnt vmcnt(21)
	v_mov_b32_e32 v62, v24
	buffer_load_dword v14, off, s[0:3], s8  ; 4-byte Folded Reload
	buffer_load_dword v15, off, s[0:3], s8 offset:4 ; 4-byte Folded Reload
	buffer_load_dword v16, off, s[0:3], s8 offset:8 ; 4-byte Folded Reload
	;; [unrolled: 1-line block ×31, first 2 shown]
	v_cndmask_b32_e64 v12, v12, v62, s[16:17]
	v_cndmask_b32_e64 v56, v7, v61, s[20:21]
	s_mov_b32 s8, 0x43d00
	v_cmp_eq_u32_e64 s[16:17], 5, v96
	s_waitcnt vmcnt(19)
	v_mov_b32_e32 v58, v26
	buffer_load_dword v24, off, s[0:3], 0 offset:3956 ; 4-byte Folded Reload
	buffer_load_dword v25, off, s[0:3], 0 offset:3960 ; 4-byte Folded Reload
	;; [unrolled: 1-line block ×32, first 2 shown]
	v_cndmask_b32_e64 v12, v12, v58, s[18:19]
	v_cmp_eq_u32_e64 s[18:19], 6, v96
	s_waitcnt vmcnt(17)
	v_cndmask_b32_e64 v35, v12, v38, s[20:21]
	buffer_load_dword v0, off, s[0:3], 0 offset:3316 ; 4-byte Folded Reload
	buffer_load_dword v1, off, s[0:3], 0 offset:3320 ; 4-byte Folded Reload
	;; [unrolled: 1-line block ×32, first 2 shown]
	v_cmp_eq_u32_e64 s[20:21], 7, v96
	s_waitcnt vmcnt(14)
	v_mov_b32_e32 v39, v17
	buffer_load_dword v0, off, s[0:3], s8   ; 4-byte Folded Reload
	buffer_load_dword v1, off, s[0:3], s8 offset:4 ; 4-byte Folded Reload
	buffer_load_dword v2, off, s[0:3], s8 offset:8 ; 4-byte Folded Reload
	;; [unrolled: 1-line block ×31, first 2 shown]
	s_waitcnt vmcnt(24)
	v_cndmask_b32_e64 v7, v163, v161, s[24:25]
	v_cndmask_b32_e64 v7, v7, v165, s[26:27]
	;; [unrolled: 1-line block ×7, first 2 shown]
	s_waitcnt vmcnt(18)
	v_cndmask_b32_e64 v13, v7, v39, s[40:41]
	v_mov_b32_e32 v7, 16
	v_lshl_add_u32 v8, v126, 2, v7
	buffer_load_dword v21, v8, s[0:3], 0 offen offset:40
	v_cndmask_b32_e64 v12, v162, v160, s[24:25]
	v_cndmask_b32_e64 v12, v12, v164, s[26:27]
	;; [unrolled: 1-line block ×8, first 2 shown]
	v_cmp_eq_u32_e64 s[8:9], 2, v126
	v_cndmask_b32_e64 v53, v108, v72, s[8:9]
	v_cndmask_b32_e64 v90, v109, v73, s[8:9]
	;; [unrolled: 1-line block ×5, first 2 shown]
	v_cmp_eq_u32_e64 s[24:25], 1, v125
	v_cmp_eq_u32_e64 s[26:27], 2, v125
	;; [unrolled: 1-line block ×7, first 2 shown]
	buffer_load_dword v5, off, s[0:3], 0 offset:3188 ; 4-byte Folded Reload
	buffer_load_dword v4, off, s[0:3], 0 offset:3060 ; 4-byte Folded Reload
	;; [unrolled: 1-line block ×4, first 2 shown]
	s_waitcnt vmcnt(20)
	v_cndmask_b32_e64 v40, v35, v16, s[22:23]
	v_mul_f64 v[80:81], v[40:41], v[144:145]
	v_cndmask_b32_e64 v12, v12, v16, s[40:41]
	v_fmac_f64_e32 v[80:81], v[12:13], v[70:71]
	v_cndmask_b32_e64 v60, v16, v80, s[44:45]
	v_cndmask_b32_e64 v59, v38, v80, s[46:47]
	;; [unrolled: 1-line block ×4, first 2 shown]
	v_cmp_eq_u32_e64 s[44:45], 1, v126
	v_cmp_eq_u32_e64 s[46:47], 0, v126
	v_cndmask_b32_e64 v61, v77, v81, s[50:51]
	s_waitcnt vmcnt(4)
	v_lshl_add_u32 v7, v21, 2, v7
	buffer_load_dword v82, v7, s[0:3], 0 offen offset:40
	v_cndmask_b32_e64 v77, v116, v128, s[8:9]
	v_cndmask_b32_e64 v35, v137, v115, s[44:45]
	;; [unrolled: 1-line block ×5, first 2 shown]
	v_cmp_eq_u32_e64 s[8:9], 1, v96
	v_cndmask_b32_e64 v0, v78, v35, s[8:9]
	v_cndmask_b32_e64 v6, v78, v35, s[24:25]
	;; [unrolled: 1-line block ×17, first 2 shown]
	v_cmp_eq_u32_e64 s[22:23], 8, v96
	v_cndmask_b32_e64 v6, v6, v151, s[38:39]
	v_cmp_eq_u32_e64 s[40:41], 8, v125
	v_cndmask_b32_e64 v9, v0, v154, s[22:23]
	v_cndmask_b32_e64 v0, v72, v34, s[8:9]
	;; [unrolled: 1-line block ×18, first 2 shown]
	v_add_f64 v[0:1], -v[8:9], 0
	v_add_f64 v[6:7], v[12:13], -v[8:9]
	v_cndmask_b32_e64 v68, v100, v80, s[42:43]
	v_cndmask_b32_e64 v71, v101, v81, s[42:43]
	v_div_scale_f64 v[10:11], s[42:43], v[6:7], v[6:7], v[0:1]
	v_rcp_f64_e32 v[14:15], v[10:11]
	v_cndmask_b32_e64 v58, v58, v80, s[48:49]
	v_cndmask_b32_e64 v57, v62, v80, s[50:51]
	;; [unrolled: 1-line block ×5, first 2 shown]
	v_cndmask_b32_e32 v69, v134, v80, vcc
	v_cndmask_b32_e64 v66, v160, v80, s[44:45]
	v_cndmask_b32_e64 v65, v162, v80, s[46:47]
	v_cndmask_b32_e32 v73, v135, v81, vcc
	v_cndmask_b32_e64 v96, v161, v81, s[44:45]
	v_cndmask_b32_e64 v97, v163, v81, s[46:47]
	v_fma_f64 v[80:81], -v[10:11], v[14:15], 1.0
	v_fmac_f64_e32 v[14:15], v[14:15], v[80:81]
	v_fma_f64 v[80:81], -v[10:11], v[14:15], 1.0
	v_fmac_f64_e32 v[14:15], v[14:15], v[80:81]
	v_div_scale_f64 v[80:81], vcc, v[0:1], v[6:7], v[0:1]
	v_cmp_eq_u32_e64 s[42:43], 3, v21
	v_cndmask_b32_e64 v94, v105, v129, s[44:45]
	v_cndmask_b32_e64 v95, v107, v129, s[46:47]
	;; [unrolled: 1-line block ×4, first 2 shown]
	s_waitcnt vmcnt(0)
	buffer_store_dword v82, off, s[0:3], 0 offset:100
	v_mul_f64 v[82:83], v[80:81], v[14:15]
	v_fma_f64 v[10:11], -v[10:11], v[82:83], v[80:81]
	v_div_fmas_f64 v[10:11], v[10:11], v[14:15], v[82:83]
	v_div_fixup_f64 v[0:1], v[10:11], v[6:7], v[0:1]
	v_cndmask_b32_e64 v6, v92, v91, s[24:25]
	v_cndmask_b32_e64 v6, v6, v90, s[26:27]
	;; [unrolled: 1-line block ×32, first 2 shown]
	v_add_f64 v[10:11], -v[0:1], 1.0
	v_mul_f64 v[6:7], v[6:7], v[10:11]
	v_fmac_f64_e32 v[6:7], v[14:15], v[0:1]
	v_cndmask_b32_e64 v15, v87, v7, s[42:43]
	v_cndmask_b32_e64 v14, v86, v6, s[42:43]
	v_cmp_eq_u32_e32 vcc, 4, v21
	buffer_store_dword v8, off, s[0:3], 0 offset:116 ; 4-byte Folded Spill
	s_nop 0
	buffer_store_dword v9, off, s[0:3], 0 offset:120 ; 4-byte Folded Spill
	buffer_store_dword v10, off, s[0:3], 0 offset:124 ; 4-byte Folded Spill
	;; [unrolled: 1-line block ×31, first 2 shown]
	v_cndmask_b32_e64 v14, v95, v94, s[24:25]
	v_cndmask_b32_e64 v14, v14, v93, s[26:27]
	;; [unrolled: 1-line block ×32, first 2 shown]
	v_cndmask_b32_e32 v117, v85, v7, vcc
	v_cndmask_b32_e32 v116, v84, v6, vcc
	v_cmp_eq_u32_e64 s[44:45], 2, v21
	v_cndmask_b32_e64 v108, v53, v6, s[44:45]
	v_mul_f64 v[8:9], v[8:9], v[10:11]
	v_cndmask_b32_e64 v53, v97, v96, s[8:9]
	v_fmac_f64_e32 v[8:9], v[12:13], v[0:1]
	v_cndmask_b32_e64 v12, v97, v96, s[24:25]
	v_cndmask_b32_e64 v53, v53, v70, s[10:11]
	;; [unrolled: 1-line block ×10, first 2 shown]
	v_mul_f64 v[14:15], v[14:15], v[10:11]
	v_cndmask_b32_e64 v12, v12, v62, s[36:37]
	v_cndmask_b32_e64 v53, v53, v63, s[20:21]
	v_fmac_f64_e32 v[14:15], v[80:81], v[0:1]
	v_cndmask_b32_e64 v12, v12, v63, s[38:39]
	v_cndmask_b32_e64 v81, v53, v64, s[22:23]
	;; [unrolled: 1-line block ×19, first 2 shown]
	v_mul_f64 v[10:11], v[80:81], v[10:11]
	v_fmac_f64_e32 v[10:11], v[12:13], v[0:1]
	buffer_load_dword v13, off, s[0:3], 0 offset:112 ; 4-byte Folded Reload
	v_cndmask_b32_e32 v53, v156, v15, vcc
	v_cndmask_b32_e32 v52, v155, v14, vcc
	buffer_store_dword v44, off, s[0:3], 0 offset:244 ; 4-byte Folded Spill
	s_nop 0
	buffer_store_dword v45, off, s[0:3], 0 offset:248 ; 4-byte Folded Spill
	buffer_store_dword v46, off, s[0:3], 0 offset:252 ; 4-byte Folded Spill
	;; [unrolled: 1-line block ×31, first 2 shown]
	v_cmp_eq_u32_e64 s[12:13], 8, v21
	v_cmp_eq_u32_e64 s[46:47], 1, v21
	;; [unrolled: 1-line block ×3, first 2 shown]
	v_mov_b32_e32 v0, -1
	v_cndmask_b32_e64 v17, v167, v7, s[12:13]
	v_cndmask_b32_e64 v109, v90, v7, s[44:45]
	;; [unrolled: 1-line block ×13, first 2 shown]
	v_cndmask_b32_e32 v77, v166, v9, vcc
	v_cndmask_b32_e32 v76, v157, v8, vcc
	v_cndmask_b32_e64 v119, v119, v9, s[42:43]
	v_cndmask_b32_e64 v118, v118, v8, s[42:43]
	;; [unrolled: 1-line block ×8, first 2 shown]
	v_cmp_eq_u32_e64 s[8:9], 6, v21
	v_cmp_eq_u32_e64 s[10:11], 5, v21
	v_pk_mov_b32 v[114:115], v[88:89], v[88:89] op_sel:[0,1]
	v_cndmask_b32_e64 v106, v75, v14, s[48:49]
	v_cndmask_b32_e64 v158, v74, v8, s[44:45]
	;; [unrolled: 1-line block ×3, first 2 shown]
	v_cndmask_b32_e32 v135, v73, v11, vcc
	v_cndmask_b32_e32 v134, v69, v10, vcc
	v_cndmask_b32_e64 v101, v71, v11, s[42:43]
	v_cndmask_b32_e64 v100, v68, v10, s[42:43]
	v_cndmask_b32_e64 v165, v70, v11, s[44:45]
	v_cndmask_b32_e64 v164, v67, v10, s[44:45]
	v_cndmask_b32_e64 v160, v66, v10, s[46:47]
	v_cndmask_b32_e64 v162, v65, v10, s[48:49]
	v_cmp_eq_u32_e32 vcc, 7, v21
	s_waitcnt vmcnt(32)
	buffer_store_dword v0, off, s[0:3], 0 offset:2292 ; 4-byte Folded Spill
	s_nop 0
	buffer_store_dword v1, off, s[0:3], 0 offset:2296 ; 4-byte Folded Spill
	buffer_store_dword v2, off, s[0:3], 0 offset:2300 ; 4-byte Folded Spill
	;; [unrolled: 1-line block ×31, first 2 shown]
	v_cndmask_b32_e64 v16, v2, v6, s[12:13]
	buffer_store_dword v0, off, s[0:3], 0 offset:2804 ; 4-byte Folded Spill
	s_nop 0
	buffer_store_dword v1, off, s[0:3], 0 offset:2808 ; 4-byte Folded Spill
	buffer_store_dword v2, off, s[0:3], 0 offset:2812 ; 4-byte Folded Spill
	;; [unrolled: 1-line block ×31, first 2 shown]
	v_cndmask_b32_e32 v17, v131, v7, vcc
	buffer_store_dword v2, off, s[0:3], 0 offset:2420 ; 4-byte Folded Spill
	s_nop 0
	buffer_store_dword v3, off, s[0:3], 0 offset:2424 ; 4-byte Folded Spill
	buffer_store_dword v4, off, s[0:3], 0 offset:2428 ; 4-byte Folded Spill
	;; [unrolled: 1-line block ×31, first 2 shown]
	v_cndmask_b32_e32 v16, v3, v6, vcc
	buffer_store_dword v2, off, s[0:3], 0 offset:2932 ; 4-byte Folded Spill
	s_nop 0
	buffer_store_dword v3, off, s[0:3], 0 offset:2936 ; 4-byte Folded Spill
	buffer_store_dword v4, off, s[0:3], 0 offset:2940 ; 4-byte Folded Spill
	buffer_store_dword v5, off, s[0:3], 0 offset:2944 ; 4-byte Folded Spill
	buffer_store_dword v6, off, s[0:3], 0 offset:2948 ; 4-byte Folded Spill
	buffer_store_dword v7, off, s[0:3], 0 offset:2952 ; 4-byte Folded Spill
	buffer_store_dword v8, off, s[0:3], 0 offset:2956 ; 4-byte Folded Spill
	buffer_store_dword v9, off, s[0:3], 0 offset:2960 ; 4-byte Folded Spill
	buffer_store_dword v10, off, s[0:3], 0 offset:2964 ; 4-byte Folded Spill
	buffer_store_dword v11, off, s[0:3], 0 offset:2968 ; 4-byte Folded Spill
	buffer_store_dword v12, off, s[0:3], 0 offset:2972 ; 4-byte Folded Spill
	buffer_store_dword v13, off, s[0:3], 0 offset:2976 ; 4-byte Folded Spill
	buffer_store_dword v14, off, s[0:3], 0 offset:2980 ; 4-byte Folded Spill
	buffer_store_dword v15, off, s[0:3], 0 offset:2984 ; 4-byte Folded Spill
	buffer_store_dword v16, off, s[0:3], 0 offset:2988 ; 4-byte Folded Spill
	buffer_store_dword v17, off, s[0:3], 0 offset:2992 ; 4-byte Folded Spill
	buffer_store_dword v18, off, s[0:3], 0 offset:2996 ; 4-byte Folded Spill
	buffer_store_dword v19, off, s[0:3], 0 offset:3000 ; 4-byte Folded Spill
	buffer_store_dword v20, off, s[0:3], 0 offset:3004 ; 4-byte Folded Spill
	buffer_store_dword v21, off, s[0:3], 0 offset:3008 ; 4-byte Folded Spill
	buffer_store_dword v22, off, s[0:3], 0 offset:3012 ; 4-byte Folded Spill
	buffer_store_dword v23, off, s[0:3], 0 offset:3016 ; 4-byte Folded Spill
	buffer_store_dword v24, off, s[0:3], 0 offset:3020 ; 4-byte Folded Spill
	buffer_store_dword v25, off, s[0:3], 0 offset:3024 ; 4-byte Folded Spill
	buffer_store_dword v26, off, s[0:3], 0 offset:3028 ; 4-byte Folded Spill
	buffer_store_dword v27, off, s[0:3], 0 offset:3032 ; 4-byte Folded Spill
	buffer_store_dword v28, off, s[0:3], 0 offset:3036 ; 4-byte Folded Spill
	buffer_store_dword v29, off, s[0:3], 0 offset:3040 ; 4-byte Folded Spill
	buffer_store_dword v30, off, s[0:3], 0 offset:3044 ; 4-byte Folded Spill
	buffer_store_dword v31, off, s[0:3], 0 offset:3048 ; 4-byte Folded Spill
	buffer_store_dword v32, off, s[0:3], 0 offset:3052 ; 4-byte Folded Spill
	buffer_store_dword v33, off, s[0:3], 0 offset:3056 ; 4-byte Folded Spill
	v_cndmask_b32_e64 v17, v130, v7, s[8:9]
	buffer_store_dword v4, off, s[0:3], 0 offset:2548 ; 4-byte Folded Spill
	s_nop 0
	buffer_store_dword v5, off, s[0:3], 0 offset:2552 ; 4-byte Folded Spill
	buffer_store_dword v6, off, s[0:3], 0 offset:2556 ; 4-byte Folded Spill
	buffer_store_dword v7, off, s[0:3], 0 offset:2560 ; 4-byte Folded Spill
	buffer_store_dword v8, off, s[0:3], 0 offset:2564 ; 4-byte Folded Spill
	buffer_store_dword v9, off, s[0:3], 0 offset:2568 ; 4-byte Folded Spill
	buffer_store_dword v10, off, s[0:3], 0 offset:2572 ; 4-byte Folded Spill
	buffer_store_dword v11, off, s[0:3], 0 offset:2576 ; 4-byte Folded Spill
	buffer_store_dword v12, off, s[0:3], 0 offset:2580 ; 4-byte Folded Spill
	buffer_store_dword v13, off, s[0:3], 0 offset:2584 ; 4-byte Folded Spill
	buffer_store_dword v14, off, s[0:3], 0 offset:2588 ; 4-byte Folded Spill
	buffer_store_dword v15, off, s[0:3], 0 offset:2592 ; 4-byte Folded Spill
	buffer_store_dword v16, off, s[0:3], 0 offset:2596 ; 4-byte Folded Spill
	buffer_store_dword v17, off, s[0:3], 0 offset:2600 ; 4-byte Folded Spill
	buffer_store_dword v18, off, s[0:3], 0 offset:2604 ; 4-byte Folded Spill
	buffer_store_dword v19, off, s[0:3], 0 offset:2608 ; 4-byte Folded Spill
	buffer_store_dword v20, off, s[0:3], 0 offset:2612 ; 4-byte Folded Spill
	buffer_store_dword v21, off, s[0:3], 0 offset:2616 ; 4-byte Folded Spill
	buffer_store_dword v22, off, s[0:3], 0 offset:2620 ; 4-byte Folded Spill
	buffer_store_dword v23, off, s[0:3], 0 offset:2624 ; 4-byte Folded Spill
	buffer_store_dword v24, off, s[0:3], 0 offset:2628 ; 4-byte Folded Spill
	buffer_store_dword v25, off, s[0:3], 0 offset:2632 ; 4-byte Folded Spill
	buffer_store_dword v26, off, s[0:3], 0 offset:2636 ; 4-byte Folded Spill
	buffer_store_dword v27, off, s[0:3], 0 offset:2640 ; 4-byte Folded Spill
	buffer_store_dword v28, off, s[0:3], 0 offset:2644 ; 4-byte Folded Spill
	buffer_store_dword v29, off, s[0:3], 0 offset:2648 ; 4-byte Folded Spill
	buffer_store_dword v30, off, s[0:3], 0 offset:2652 ; 4-byte Folded Spill
	buffer_store_dword v31, off, s[0:3], 0 offset:2656 ; 4-byte Folded Spill
	buffer_store_dword v32, off, s[0:3], 0 offset:2660 ; 4-byte Folded Spill
	buffer_store_dword v33, off, s[0:3], 0 offset:2664 ; 4-byte Folded Spill
	buffer_store_dword v34, off, s[0:3], 0 offset:2668 ; 4-byte Folded Spill
	buffer_store_dword v35, off, s[0:3], 0 offset:2672 ; 4-byte Folded Spill
	v_cndmask_b32_e64 v12, v4, v6, s[8:9]
	;; [unrolled: 34-line block ×6, first 2 shown]
	buffer_store_dword v0, off, s[0:3], 0 offset:1780 ; 4-byte Folded Spill
	s_nop 0
	buffer_store_dword v1, off, s[0:3], 0 offset:1784 ; 4-byte Folded Spill
	buffer_store_dword v2, off, s[0:3], 0 offset:1788 ; 4-byte Folded Spill
	;; [unrolled: 1-line block ×31, first 2 shown]
	v_cndmask_b32_e32 v17, v146, v15, vcc
	buffer_store_dword v2, off, s[0:3], 0 offset:1396 ; 4-byte Folded Spill
	s_nop 0
	buffer_store_dword v3, off, s[0:3], 0 offset:1400 ; 4-byte Folded Spill
	buffer_store_dword v4, off, s[0:3], 0 offset:1404 ; 4-byte Folded Spill
	buffer_store_dword v5, off, s[0:3], 0 offset:1408 ; 4-byte Folded Spill
	buffer_store_dword v6, off, s[0:3], 0 offset:1412 ; 4-byte Folded Spill
	buffer_store_dword v7, off, s[0:3], 0 offset:1416 ; 4-byte Folded Spill
	buffer_store_dword v8, off, s[0:3], 0 offset:1420 ; 4-byte Folded Spill
	buffer_store_dword v9, off, s[0:3], 0 offset:1424 ; 4-byte Folded Spill
	buffer_store_dword v10, off, s[0:3], 0 offset:1428 ; 4-byte Folded Spill
	buffer_store_dword v11, off, s[0:3], 0 offset:1432 ; 4-byte Folded Spill
	buffer_store_dword v12, off, s[0:3], 0 offset:1436 ; 4-byte Folded Spill
	buffer_store_dword v13, off, s[0:3], 0 offset:1440 ; 4-byte Folded Spill
	buffer_store_dword v14, off, s[0:3], 0 offset:1444 ; 4-byte Folded Spill
	buffer_store_dword v15, off, s[0:3], 0 offset:1448 ; 4-byte Folded Spill
	buffer_store_dword v16, off, s[0:3], 0 offset:1452 ; 4-byte Folded Spill
	buffer_store_dword v17, off, s[0:3], 0 offset:1456 ; 4-byte Folded Spill
	buffer_store_dword v18, off, s[0:3], 0 offset:1460 ; 4-byte Folded Spill
	buffer_store_dword v19, off, s[0:3], 0 offset:1464 ; 4-byte Folded Spill
	buffer_store_dword v20, off, s[0:3], 0 offset:1468 ; 4-byte Folded Spill
	buffer_store_dword v21, off, s[0:3], 0 offset:1472 ; 4-byte Folded Spill
	buffer_store_dword v22, off, s[0:3], 0 offset:1476 ; 4-byte Folded Spill
	buffer_store_dword v23, off, s[0:3], 0 offset:1480 ; 4-byte Folded Spill
	buffer_store_dword v24, off, s[0:3], 0 offset:1484 ; 4-byte Folded Spill
	buffer_store_dword v25, off, s[0:3], 0 offset:1488 ; 4-byte Folded Spill
	buffer_store_dword v26, off, s[0:3], 0 offset:1492 ; 4-byte Folded Spill
	buffer_store_dword v27, off, s[0:3], 0 offset:1496 ; 4-byte Folded Spill
	buffer_store_dword v28, off, s[0:3], 0 offset:1500 ; 4-byte Folded Spill
	buffer_store_dword v29, off, s[0:3], 0 offset:1504 ; 4-byte Folded Spill
	buffer_store_dword v30, off, s[0:3], 0 offset:1508 ; 4-byte Folded Spill
	buffer_store_dword v31, off, s[0:3], 0 offset:1512 ; 4-byte Folded Spill
	buffer_store_dword v32, off, s[0:3], 0 offset:1516 ; 4-byte Folded Spill
	buffer_store_dword v33, off, s[0:3], 0 offset:1520 ; 4-byte Folded Spill
	v_cndmask_b32_e32 v16, v98, v14, vcc
	buffer_store_dword v2, off, s[0:3], 0 offset:1908 ; 4-byte Folded Spill
	s_nop 0
	buffer_store_dword v3, off, s[0:3], 0 offset:1912 ; 4-byte Folded Spill
	buffer_store_dword v4, off, s[0:3], 0 offset:1916 ; 4-byte Folded Spill
	buffer_store_dword v5, off, s[0:3], 0 offset:1920 ; 4-byte Folded Spill
	buffer_store_dword v6, off, s[0:3], 0 offset:1924 ; 4-byte Folded Spill
	buffer_store_dword v7, off, s[0:3], 0 offset:1928 ; 4-byte Folded Spill
	buffer_store_dword v8, off, s[0:3], 0 offset:1932 ; 4-byte Folded Spill
	buffer_store_dword v9, off, s[0:3], 0 offset:1936 ; 4-byte Folded Spill
	buffer_store_dword v10, off, s[0:3], 0 offset:1940 ; 4-byte Folded Spill
	buffer_store_dword v11, off, s[0:3], 0 offset:1944 ; 4-byte Folded Spill
	buffer_store_dword v12, off, s[0:3], 0 offset:1948 ; 4-byte Folded Spill
	buffer_store_dword v13, off, s[0:3], 0 offset:1952 ; 4-byte Folded Spill
	buffer_store_dword v14, off, s[0:3], 0 offset:1956 ; 4-byte Folded Spill
	buffer_store_dword v15, off, s[0:3], 0 offset:1960 ; 4-byte Folded Spill
	buffer_store_dword v16, off, s[0:3], 0 offset:1964 ; 4-byte Folded Spill
	buffer_store_dword v17, off, s[0:3], 0 offset:1968 ; 4-byte Folded Spill
	buffer_store_dword v18, off, s[0:3], 0 offset:1972 ; 4-byte Folded Spill
	buffer_store_dword v19, off, s[0:3], 0 offset:1976 ; 4-byte Folded Spill
	buffer_store_dword v20, off, s[0:3], 0 offset:1980 ; 4-byte Folded Spill
	buffer_store_dword v21, off, s[0:3], 0 offset:1984 ; 4-byte Folded Spill
	buffer_store_dword v22, off, s[0:3], 0 offset:1988 ; 4-byte Folded Spill
	buffer_store_dword v23, off, s[0:3], 0 offset:1992 ; 4-byte Folded Spill
	buffer_store_dword v24, off, s[0:3], 0 offset:1996 ; 4-byte Folded Spill
	buffer_store_dword v25, off, s[0:3], 0 offset:2000 ; 4-byte Folded Spill
	buffer_store_dword v26, off, s[0:3], 0 offset:2004 ; 4-byte Folded Spill
	buffer_store_dword v27, off, s[0:3], 0 offset:2008 ; 4-byte Folded Spill
	buffer_store_dword v28, off, s[0:3], 0 offset:2012 ; 4-byte Folded Spill
	buffer_store_dword v29, off, s[0:3], 0 offset:2016 ; 4-byte Folded Spill
	buffer_store_dword v30, off, s[0:3], 0 offset:2020 ; 4-byte Folded Spill
	buffer_store_dword v31, off, s[0:3], 0 offset:2024 ; 4-byte Folded Spill
	buffer_store_dword v32, off, s[0:3], 0 offset:2028 ; 4-byte Folded Spill
	buffer_store_dword v33, off, s[0:3], 0 offset:2032 ; 4-byte Folded Spill
	v_cndmask_b32_e64 v17, v122, v15, s[8:9]
	buffer_store_dword v4, off, s[0:3], 0 offset:1524 ; 4-byte Folded Spill
	s_nop 0
	buffer_store_dword v5, off, s[0:3], 0 offset:1528 ; 4-byte Folded Spill
	buffer_store_dword v6, off, s[0:3], 0 offset:1532 ; 4-byte Folded Spill
	buffer_store_dword v7, off, s[0:3], 0 offset:1536 ; 4-byte Folded Spill
	buffer_store_dword v8, off, s[0:3], 0 offset:1540 ; 4-byte Folded Spill
	buffer_store_dword v9, off, s[0:3], 0 offset:1544 ; 4-byte Folded Spill
	buffer_store_dword v10, off, s[0:3], 0 offset:1548 ; 4-byte Folded Spill
	buffer_store_dword v11, off, s[0:3], 0 offset:1552 ; 4-byte Folded Spill
	buffer_store_dword v12, off, s[0:3], 0 offset:1556 ; 4-byte Folded Spill
	buffer_store_dword v13, off, s[0:3], 0 offset:1560 ; 4-byte Folded Spill
	buffer_store_dword v14, off, s[0:3], 0 offset:1564 ; 4-byte Folded Spill
	buffer_store_dword v15, off, s[0:3], 0 offset:1568 ; 4-byte Folded Spill
	buffer_store_dword v16, off, s[0:3], 0 offset:1572 ; 4-byte Folded Spill
	buffer_store_dword v17, off, s[0:3], 0 offset:1576 ; 4-byte Folded Spill
	buffer_store_dword v18, off, s[0:3], 0 offset:1580 ; 4-byte Folded Spill
	buffer_store_dword v19, off, s[0:3], 0 offset:1584 ; 4-byte Folded Spill
	buffer_store_dword v20, off, s[0:3], 0 offset:1588 ; 4-byte Folded Spill
	buffer_store_dword v21, off, s[0:3], 0 offset:1592 ; 4-byte Folded Spill
	buffer_store_dword v22, off, s[0:3], 0 offset:1596 ; 4-byte Folded Spill
	buffer_store_dword v23, off, s[0:3], 0 offset:1600 ; 4-byte Folded Spill
	buffer_store_dword v24, off, s[0:3], 0 offset:1604 ; 4-byte Folded Spill
	buffer_store_dword v25, off, s[0:3], 0 offset:1608 ; 4-byte Folded Spill
	buffer_store_dword v26, off, s[0:3], 0 offset:1612 ; 4-byte Folded Spill
	buffer_store_dword v27, off, s[0:3], 0 offset:1616 ; 4-byte Folded Spill
	buffer_store_dword v28, off, s[0:3], 0 offset:1620 ; 4-byte Folded Spill
	buffer_store_dword v29, off, s[0:3], 0 offset:1624 ; 4-byte Folded Spill
	buffer_store_dword v30, off, s[0:3], 0 offset:1628 ; 4-byte Folded Spill
	buffer_store_dword v31, off, s[0:3], 0 offset:1632 ; 4-byte Folded Spill
	buffer_store_dword v32, off, s[0:3], 0 offset:1636 ; 4-byte Folded Spill
	buffer_store_dword v33, off, s[0:3], 0 offset:1640 ; 4-byte Folded Spill
	buffer_store_dword v34, off, s[0:3], 0 offset:1644 ; 4-byte Folded Spill
	buffer_store_dword v35, off, s[0:3], 0 offset:1648 ; 4-byte Folded Spill
	v_cndmask_b32_e64 v12, v141, v14, s[8:9]
	;; [unrolled: 34-line block ×6, first 2 shown]
	buffer_store_dword v6, off, s[0:3], 0 offset:884 ; 4-byte Folded Spill
	s_nop 0
	buffer_store_dword v7, off, s[0:3], 0 offset:888 ; 4-byte Folded Spill
	buffer_store_dword v8, off, s[0:3], 0 offset:892 ; 4-byte Folded Spill
	;; [unrolled: 1-line block ×31, first 2 shown]
	v_cndmask_b32_e32 v15, v151, v9, vcc
	buffer_store_dword v0, off, s[0:3], 0 offset:500 ; 4-byte Folded Spill
	s_nop 0
	buffer_store_dword v1, off, s[0:3], 0 offset:504 ; 4-byte Folded Spill
	buffer_store_dword v2, off, s[0:3], 0 offset:508 ; 4-byte Folded Spill
	buffer_store_dword v3, off, s[0:3], 0 offset:512 ; 4-byte Folded Spill
	buffer_store_dword v4, off, s[0:3], 0 offset:516 ; 4-byte Folded Spill
	buffer_store_dword v5, off, s[0:3], 0 offset:520 ; 4-byte Folded Spill
	buffer_store_dword v6, off, s[0:3], 0 offset:524 ; 4-byte Folded Spill
	buffer_store_dword v7, off, s[0:3], 0 offset:528 ; 4-byte Folded Spill
	buffer_store_dword v8, off, s[0:3], 0 offset:532 ; 4-byte Folded Spill
	buffer_store_dword v9, off, s[0:3], 0 offset:536 ; 4-byte Folded Spill
	buffer_store_dword v10, off, s[0:3], 0 offset:540 ; 4-byte Folded Spill
	buffer_store_dword v11, off, s[0:3], 0 offset:544 ; 4-byte Folded Spill
	buffer_store_dword v12, off, s[0:3], 0 offset:548 ; 4-byte Folded Spill
	buffer_store_dword v13, off, s[0:3], 0 offset:552 ; 4-byte Folded Spill
	buffer_store_dword v14, off, s[0:3], 0 offset:556 ; 4-byte Folded Spill
	buffer_store_dword v15, off, s[0:3], 0 offset:560 ; 4-byte Folded Spill
	buffer_store_dword v16, off, s[0:3], 0 offset:564 ; 4-byte Folded Spill
	buffer_store_dword v17, off, s[0:3], 0 offset:568 ; 4-byte Folded Spill
	buffer_store_dword v18, off, s[0:3], 0 offset:572 ; 4-byte Folded Spill
	buffer_store_dword v19, off, s[0:3], 0 offset:576 ; 4-byte Folded Spill
	buffer_store_dword v20, off, s[0:3], 0 offset:580 ; 4-byte Folded Spill
	buffer_store_dword v21, off, s[0:3], 0 offset:584 ; 4-byte Folded Spill
	buffer_store_dword v22, off, s[0:3], 0 offset:588 ; 4-byte Folded Spill
	buffer_store_dword v23, off, s[0:3], 0 offset:592 ; 4-byte Folded Spill
	buffer_store_dword v24, off, s[0:3], 0 offset:596 ; 4-byte Folded Spill
	buffer_store_dword v25, off, s[0:3], 0 offset:600 ; 4-byte Folded Spill
	buffer_store_dword v26, off, s[0:3], 0 offset:604 ; 4-byte Folded Spill
	buffer_store_dword v27, off, s[0:3], 0 offset:608 ; 4-byte Folded Spill
	buffer_store_dword v28, off, s[0:3], 0 offset:612 ; 4-byte Folded Spill
	buffer_store_dword v29, off, s[0:3], 0 offset:616 ; 4-byte Folded Spill
	buffer_store_dword v30, off, s[0:3], 0 offset:620 ; 4-byte Folded Spill
	buffer_store_dword v31, off, s[0:3], 0 offset:624 ; 4-byte Folded Spill
	v_cndmask_b32_e32 v14, v143, v8, vcc
	buffer_store_dword v0, off, s[0:3], 0 offset:1012 ; 4-byte Folded Spill
	s_nop 0
	buffer_store_dword v1, off, s[0:3], 0 offset:1016 ; 4-byte Folded Spill
	buffer_store_dword v2, off, s[0:3], 0 offset:1020 ; 4-byte Folded Spill
	buffer_store_dword v3, off, s[0:3], 0 offset:1024 ; 4-byte Folded Spill
	buffer_store_dword v4, off, s[0:3], 0 offset:1028 ; 4-byte Folded Spill
	buffer_store_dword v5, off, s[0:3], 0 offset:1032 ; 4-byte Folded Spill
	buffer_store_dword v6, off, s[0:3], 0 offset:1036 ; 4-byte Folded Spill
	buffer_store_dword v7, off, s[0:3], 0 offset:1040 ; 4-byte Folded Spill
	buffer_store_dword v8, off, s[0:3], 0 offset:1044 ; 4-byte Folded Spill
	buffer_store_dword v9, off, s[0:3], 0 offset:1048 ; 4-byte Folded Spill
	buffer_store_dword v10, off, s[0:3], 0 offset:1052 ; 4-byte Folded Spill
	buffer_store_dword v11, off, s[0:3], 0 offset:1056 ; 4-byte Folded Spill
	buffer_store_dword v12, off, s[0:3], 0 offset:1060 ; 4-byte Folded Spill
	buffer_store_dword v13, off, s[0:3], 0 offset:1064 ; 4-byte Folded Spill
	buffer_store_dword v14, off, s[0:3], 0 offset:1068 ; 4-byte Folded Spill
	buffer_store_dword v15, off, s[0:3], 0 offset:1072 ; 4-byte Folded Spill
	buffer_store_dword v16, off, s[0:3], 0 offset:1076 ; 4-byte Folded Spill
	buffer_store_dword v17, off, s[0:3], 0 offset:1080 ; 4-byte Folded Spill
	buffer_store_dword v18, off, s[0:3], 0 offset:1084 ; 4-byte Folded Spill
	buffer_store_dword v19, off, s[0:3], 0 offset:1088 ; 4-byte Folded Spill
	buffer_store_dword v20, off, s[0:3], 0 offset:1092 ; 4-byte Folded Spill
	buffer_store_dword v21, off, s[0:3], 0 offset:1096 ; 4-byte Folded Spill
	buffer_store_dword v22, off, s[0:3], 0 offset:1100 ; 4-byte Folded Spill
	buffer_store_dword v23, off, s[0:3], 0 offset:1104 ; 4-byte Folded Spill
	buffer_store_dword v24, off, s[0:3], 0 offset:1108 ; 4-byte Folded Spill
	buffer_store_dword v25, off, s[0:3], 0 offset:1112 ; 4-byte Folded Spill
	buffer_store_dword v26, off, s[0:3], 0 offset:1116 ; 4-byte Folded Spill
	buffer_store_dword v27, off, s[0:3], 0 offset:1120 ; 4-byte Folded Spill
	buffer_store_dword v28, off, s[0:3], 0 offset:1124 ; 4-byte Folded Spill
	buffer_store_dword v29, off, s[0:3], 0 offset:1128 ; 4-byte Folded Spill
	buffer_store_dword v30, off, s[0:3], 0 offset:1132 ; 4-byte Folded Spill
	buffer_store_dword v31, off, s[0:3], 0 offset:1136 ; 4-byte Folded Spill
	v_cndmask_b32_e64 v15, v150, v9, s[8:9]
	buffer_store_dword v2, off, s[0:3], 0 offset:628 ; 4-byte Folded Spill
	s_nop 0
	buffer_store_dword v3, off, s[0:3], 0 offset:632 ; 4-byte Folded Spill
	buffer_store_dword v4, off, s[0:3], 0 offset:636 ; 4-byte Folded Spill
	buffer_store_dword v5, off, s[0:3], 0 offset:640 ; 4-byte Folded Spill
	buffer_store_dword v6, off, s[0:3], 0 offset:644 ; 4-byte Folded Spill
	buffer_store_dword v7, off, s[0:3], 0 offset:648 ; 4-byte Folded Spill
	buffer_store_dword v8, off, s[0:3], 0 offset:652 ; 4-byte Folded Spill
	buffer_store_dword v9, off, s[0:3], 0 offset:656 ; 4-byte Folded Spill
	buffer_store_dword v10, off, s[0:3], 0 offset:660 ; 4-byte Folded Spill
	buffer_store_dword v11, off, s[0:3], 0 offset:664 ; 4-byte Folded Spill
	buffer_store_dword v12, off, s[0:3], 0 offset:668 ; 4-byte Folded Spill
	buffer_store_dword v13, off, s[0:3], 0 offset:672 ; 4-byte Folded Spill
	buffer_store_dword v14, off, s[0:3], 0 offset:676 ; 4-byte Folded Spill
	buffer_store_dword v15, off, s[0:3], 0 offset:680 ; 4-byte Folded Spill
	buffer_store_dword v16, off, s[0:3], 0 offset:684 ; 4-byte Folded Spill
	buffer_store_dword v17, off, s[0:3], 0 offset:688 ; 4-byte Folded Spill
	buffer_store_dword v18, off, s[0:3], 0 offset:692 ; 4-byte Folded Spill
	buffer_store_dword v19, off, s[0:3], 0 offset:696 ; 4-byte Folded Spill
	buffer_store_dword v20, off, s[0:3], 0 offset:700 ; 4-byte Folded Spill
	buffer_store_dword v21, off, s[0:3], 0 offset:704 ; 4-byte Folded Spill
	buffer_store_dword v22, off, s[0:3], 0 offset:708 ; 4-byte Folded Spill
	buffer_store_dword v23, off, s[0:3], 0 offset:712 ; 4-byte Folded Spill
	buffer_store_dword v24, off, s[0:3], 0 offset:716 ; 4-byte Folded Spill
	buffer_store_dword v25, off, s[0:3], 0 offset:720 ; 4-byte Folded Spill
	buffer_store_dword v26, off, s[0:3], 0 offset:724 ; 4-byte Folded Spill
	buffer_store_dword v27, off, s[0:3], 0 offset:728 ; 4-byte Folded Spill
	buffer_store_dword v28, off, s[0:3], 0 offset:732 ; 4-byte Folded Spill
	buffer_store_dword v29, off, s[0:3], 0 offset:736 ; 4-byte Folded Spill
	buffer_store_dword v30, off, s[0:3], 0 offset:740 ; 4-byte Folded Spill
	buffer_store_dword v31, off, s[0:3], 0 offset:744 ; 4-byte Folded Spill
	buffer_store_dword v32, off, s[0:3], 0 offset:748 ; 4-byte Folded Spill
	buffer_store_dword v33, off, s[0:3], 0 offset:752 ; 4-byte Folded Spill
	v_cndmask_b32_e64 v12, v142, v8, s[8:9]
	;; [unrolled: 34-line block ×4, first 2 shown]
	v_cndmask_b32_e64 v112, v112, v8, s[10:11]
	buffer_store_dword v0, off, s[0:3], 0 offset:3316 ; 4-byte Folded Spill
	s_nop 0
	buffer_store_dword v1, off, s[0:3], 0 offset:3320 ; 4-byte Folded Spill
	buffer_store_dword v2, off, s[0:3], 0 offset:3324 ; 4-byte Folded Spill
	;; [unrolled: 1-line block ×31, first 2 shown]
	v_cndmask_b32_e64 v16, v60, v10, s[12:13]
	s_mov_b32 s12, 0x43d00
	buffer_store_dword v0, off, s[0:3], s12 ; 4-byte Folded Spill
	s_nop 0
	buffer_store_dword v1, off, s[0:3], s12 offset:4 ; 4-byte Folded Spill
	buffer_store_dword v2, off, s[0:3], s12 offset:8 ; 4-byte Folded Spill
	buffer_store_dword v3, off, s[0:3], s12 offset:12 ; 4-byte Folded Spill
	buffer_store_dword v4, off, s[0:3], s12 offset:16 ; 4-byte Folded Spill
	buffer_store_dword v5, off, s[0:3], s12 offset:20 ; 4-byte Folded Spill
	buffer_store_dword v6, off, s[0:3], s12 offset:24 ; 4-byte Folded Spill
	buffer_store_dword v7, off, s[0:3], s12 offset:28 ; 4-byte Folded Spill
	buffer_store_dword v8, off, s[0:3], s12 offset:32 ; 4-byte Folded Spill
	buffer_store_dword v9, off, s[0:3], s12 offset:36 ; 4-byte Folded Spill
	buffer_store_dword v10, off, s[0:3], s12 offset:40 ; 4-byte Folded Spill
	buffer_store_dword v11, off, s[0:3], s12 offset:44 ; 4-byte Folded Spill
	buffer_store_dword v12, off, s[0:3], s12 offset:48 ; 4-byte Folded Spill
	buffer_store_dword v13, off, s[0:3], s12 offset:52 ; 4-byte Folded Spill
	buffer_store_dword v14, off, s[0:3], s12 offset:56 ; 4-byte Folded Spill
	buffer_store_dword v15, off, s[0:3], s12 offset:60 ; 4-byte Folded Spill
	buffer_store_dword v16, off, s[0:3], s12 offset:64 ; 4-byte Folded Spill
	buffer_store_dword v17, off, s[0:3], s12 offset:68 ; 4-byte Folded Spill
	buffer_store_dword v18, off, s[0:3], s12 offset:72 ; 4-byte Folded Spill
	buffer_store_dword v19, off, s[0:3], s12 offset:76 ; 4-byte Folded Spill
	buffer_store_dword v20, off, s[0:3], s12 offset:80 ; 4-byte Folded Spill
	buffer_store_dword v21, off, s[0:3], s12 offset:84 ; 4-byte Folded Spill
	buffer_store_dword v22, off, s[0:3], s12 offset:88 ; 4-byte Folded Spill
	buffer_store_dword v23, off, s[0:3], s12 offset:92 ; 4-byte Folded Spill
	buffer_store_dword v24, off, s[0:3], s12 offset:96 ; 4-byte Folded Spill
	buffer_store_dword v25, off, s[0:3], s12 offset:100 ; 4-byte Folded Spill
	buffer_store_dword v26, off, s[0:3], s12 offset:104 ; 4-byte Folded Spill
	buffer_store_dword v27, off, s[0:3], s12 offset:108 ; 4-byte Folded Spill
	buffer_store_dword v28, off, s[0:3], s12 offset:112 ; 4-byte Folded Spill
	buffer_store_dword v29, off, s[0:3], s12 offset:116 ; 4-byte Folded Spill
	buffer_store_dword v30, off, s[0:3], s12 offset:120 ; 4-byte Folded Spill
	buffer_store_dword v31, off, s[0:3], s12 offset:124 ; 4-byte Folded Spill
	v_cndmask_b32_e32 v15, v63, v11, vcc
	buffer_store_dword v0, off, s[0:3], 0 offset:3572 ; 4-byte Folded Spill
	s_nop 0
	buffer_store_dword v1, off, s[0:3], 0 offset:3576 ; 4-byte Folded Spill
	buffer_store_dword v2, off, s[0:3], 0 offset:3580 ; 4-byte Folded Spill
	;; [unrolled: 1-line block ×31, first 2 shown]
	v_cndmask_b32_e32 v14, v59, v10, vcc
	buffer_store_dword v0, off, s[0:3], 0 offset:3956 ; 4-byte Folded Spill
	s_nop 0
	buffer_store_dword v1, off, s[0:3], 0 offset:3960 ; 4-byte Folded Spill
	buffer_store_dword v2, off, s[0:3], 0 offset:3964 ; 4-byte Folded Spill
	;; [unrolled: 1-line block ×31, first 2 shown]
	v_cndmask_b32_e64 v15, v62, v11, s[8:9]
	buffer_store_dword v2, off, s[0:3], 0 offset:3700 ; 4-byte Folded Spill
	s_nop 0
	buffer_store_dword v3, off, s[0:3], 0 offset:3704 ; 4-byte Folded Spill
	buffer_store_dword v4, off, s[0:3], 0 offset:3708 ; 4-byte Folded Spill
	;; [unrolled: 1-line block ×31, first 2 shown]
	v_cndmask_b32_e64 v12, v58, v10, s[8:9]
	s_mov_b32 s8, 0x3fd00
	buffer_store_dword v0, off, s[0:3], s8  ; 4-byte Folded Spill
	s_nop 0
	buffer_store_dword v1, off, s[0:3], s8 offset:4 ; 4-byte Folded Spill
	buffer_store_dword v2, off, s[0:3], s8 offset:8 ; 4-byte Folded Spill
	;; [unrolled: 1-line block ×31, first 2 shown]
	s_mov_b32 s8, 0x41d00
	v_cndmask_b32_e64 v11, v61, v11, s[10:11]
	buffer_store_dword v0, off, s[0:3], 0 offset:3828 ; 4-byte Folded Spill
	s_nop 0
	buffer_store_dword v1, off, s[0:3], 0 offset:3832 ; 4-byte Folded Spill
	buffer_store_dword v2, off, s[0:3], 0 offset:3836 ; 4-byte Folded Spill
	buffer_store_dword v3, off, s[0:3], 0 offset:3840 ; 4-byte Folded Spill
	buffer_store_dword v4, off, s[0:3], 0 offset:3844 ; 4-byte Folded Spill
	buffer_store_dword v5, off, s[0:3], 0 offset:3848 ; 4-byte Folded Spill
	buffer_store_dword v6, off, s[0:3], 0 offset:3852 ; 4-byte Folded Spill
	buffer_store_dword v7, off, s[0:3], 0 offset:3856 ; 4-byte Folded Spill
	buffer_store_dword v8, off, s[0:3], 0 offset:3860 ; 4-byte Folded Spill
	buffer_store_dword v9, off, s[0:3], 0 offset:3864 ; 4-byte Folded Spill
	buffer_store_dword v10, off, s[0:3], 0 offset:3868 ; 4-byte Folded Spill
	buffer_store_dword v11, off, s[0:3], 0 offset:3872 ; 4-byte Folded Spill
	buffer_store_dword v12, off, s[0:3], 0 offset:3876 ; 4-byte Folded Spill
	buffer_store_dword v13, off, s[0:3], 0 offset:3880 ; 4-byte Folded Spill
	buffer_store_dword v14, off, s[0:3], 0 offset:3884 ; 4-byte Folded Spill
	buffer_store_dword v15, off, s[0:3], 0 offset:3888 ; 4-byte Folded Spill
	buffer_store_dword v16, off, s[0:3], 0 offset:3892 ; 4-byte Folded Spill
	buffer_store_dword v17, off, s[0:3], 0 offset:3896 ; 4-byte Folded Spill
	buffer_store_dword v18, off, s[0:3], 0 offset:3900 ; 4-byte Folded Spill
	buffer_store_dword v19, off, s[0:3], 0 offset:3904 ; 4-byte Folded Spill
	buffer_store_dword v20, off, s[0:3], 0 offset:3908 ; 4-byte Folded Spill
	buffer_store_dword v21, off, s[0:3], 0 offset:3912 ; 4-byte Folded Spill
	buffer_store_dword v22, off, s[0:3], 0 offset:3916 ; 4-byte Folded Spill
	buffer_store_dword v23, off, s[0:3], 0 offset:3920 ; 4-byte Folded Spill
	buffer_store_dword v24, off, s[0:3], 0 offset:3924 ; 4-byte Folded Spill
	buffer_store_dword v25, off, s[0:3], 0 offset:3928 ; 4-byte Folded Spill
	buffer_store_dword v26, off, s[0:3], 0 offset:3932 ; 4-byte Folded Spill
	buffer_store_dword v27, off, s[0:3], 0 offset:3936 ; 4-byte Folded Spill
	buffer_store_dword v28, off, s[0:3], 0 offset:3940 ; 4-byte Folded Spill
	buffer_store_dword v29, off, s[0:3], 0 offset:3944 ; 4-byte Folded Spill
	buffer_store_dword v30, off, s[0:3], 0 offset:3948 ; 4-byte Folded Spill
	buffer_store_dword v31, off, s[0:3], 0 offset:3952 ; 4-byte Folded Spill
	v_cndmask_b32_e64 v10, v57, v10, s[10:11]
	buffer_store_dword v0, off, s[0:3], s8  ; 4-byte Folded Spill
	s_nop 0
	buffer_store_dword v1, off, s[0:3], s8 offset:4 ; 4-byte Folded Spill
	buffer_store_dword v2, off, s[0:3], s8 offset:8 ; 4-byte Folded Spill
	;; [unrolled: 1-line block ×31, first 2 shown]
.LBB0_56:
	s_or_b64 exec, exec, s[58:59]
	buffer_store_dword v0, off, s[0:3], 0 offset:96
	s_mov_b64 s[20:21], exec
	buffer_load_dword v22, off, s[0:3], 0 offset:3316 ; 4-byte Folded Reload
	buffer_load_dword v23, off, s[0:3], 0 offset:3320 ; 4-byte Folded Reload
	;; [unrolled: 1-line block ×32, first 2 shown]
	s_and_b64 s[8:9], s[20:21], s[4:5]
	s_waitcnt vmcnt(14)
	v_mov_b32_e32 v31, v39
	s_mov_b64 exec, s[8:9]
	s_cbranch_execz .LBB0_65
; %bb.57:
	s_mov_b64 s[22:23], 0
	s_branch .LBB0_59
.LBB0_58:                               ;   in Loop: Header=BB0_59 Depth=1
	s_or_b64 exec, exec, s[10:11]
	v_cmp_gt_i32_e32 vcc, 0, v6
	s_or_b64 s[22:23], vcc, s[22:23]
	v_mov_b32_e32 v123, v6
	s_andn2_b64 exec, exec, s[22:23]
	s_cbranch_execz .LBB0_65
.LBB0_59:                               ; =>This Inner Loop Header: Depth=1
	buffer_load_dword v22, off, s[0:3], 0 offset:756 ; 4-byte Folded Reload
	buffer_load_dword v23, off, s[0:3], 0 offset:760 ; 4-byte Folded Reload
	;; [unrolled: 1-line block ×32, first 2 shown]
	v_cmp_eq_u32_e32 vcc, 1, v123
	v_cndmask_b32_e32 v6, v153, v137, vcc
	v_cmp_eq_u32_e64 s[8:9], 2, v123
	v_cndmask_b32_e64 v6, v6, v159, s[8:9]
	v_cmp_eq_u32_e64 s[10:11], 3, v123
	v_cndmask_b32_e64 v6, v6, v119, s[10:11]
	;; [unrolled: 2-line block ×3, first 2 shown]
	v_cmp_eq_u32_e64 s[14:15], 5, v123
	v_cmp_eq_u32_e64 s[16:17], 6, v123
	;; [unrolled: 1-line block ×3, first 2 shown]
	v_cndmask_b32_e32 v7, v152, v136, vcc
	v_cndmask_b32_e64 v7, v7, v158, s[8:9]
	v_cndmask_b32_e64 v7, v7, v118, s[10:11]
	;; [unrolled: 1-line block ×4, first 2 shown]
	v_cmp_eq_u32_e32 vcc, 8, v123
	s_mov_b64 s[8:9], 0
	s_waitcnt vmcnt(20)
	v_cndmask_b32_e64 v6, v6, v33, s[14:15]
	buffer_load_dword v22, off, s[0:3], 0 offset:628 ; 4-byte Folded Reload
	buffer_load_dword v23, off, s[0:3], 0 offset:632 ; 4-byte Folded Reload
	buffer_load_dword v24, off, s[0:3], 0 offset:636 ; 4-byte Folded Reload
	buffer_load_dword v25, off, s[0:3], 0 offset:640 ; 4-byte Folded Reload
	buffer_load_dword v26, off, s[0:3], 0 offset:644 ; 4-byte Folded Reload
	buffer_load_dword v27, off, s[0:3], 0 offset:648 ; 4-byte Folded Reload
	buffer_load_dword v28, off, s[0:3], 0 offset:652 ; 4-byte Folded Reload
	buffer_load_dword v29, off, s[0:3], 0 offset:656 ; 4-byte Folded Reload
	buffer_load_dword v30, off, s[0:3], 0 offset:660 ; 4-byte Folded Reload
	buffer_load_dword v31, off, s[0:3], 0 offset:664 ; 4-byte Folded Reload
	buffer_load_dword v32, off, s[0:3], 0 offset:668 ; 4-byte Folded Reload
	buffer_load_dword v33, off, s[0:3], 0 offset:672 ; 4-byte Folded Reload
	buffer_load_dword v34, off, s[0:3], 0 offset:676 ; 4-byte Folded Reload
	buffer_load_dword v35, off, s[0:3], 0 offset:680 ; 4-byte Folded Reload
	buffer_load_dword v36, off, s[0:3], 0 offset:684 ; 4-byte Folded Reload
	buffer_load_dword v37, off, s[0:3], 0 offset:688 ; 4-byte Folded Reload
	buffer_load_dword v38, off, s[0:3], 0 offset:692 ; 4-byte Folded Reload
	buffer_load_dword v39, off, s[0:3], 0 offset:696 ; 4-byte Folded Reload
	buffer_load_dword v40, off, s[0:3], 0 offset:700 ; 4-byte Folded Reload
	buffer_load_dword v41, off, s[0:3], 0 offset:704 ; 4-byte Folded Reload
	buffer_load_dword v42, off, s[0:3], 0 offset:708 ; 4-byte Folded Reload
	buffer_load_dword v43, off, s[0:3], 0 offset:712 ; 4-byte Folded Reload
	buffer_load_dword v44, off, s[0:3], 0 offset:716 ; 4-byte Folded Reload
	buffer_load_dword v45, off, s[0:3], 0 offset:720 ; 4-byte Folded Reload
	buffer_load_dword v46, off, s[0:3], 0 offset:724 ; 4-byte Folded Reload
	buffer_load_dword v47, off, s[0:3], 0 offset:728 ; 4-byte Folded Reload
	buffer_load_dword v48, off, s[0:3], 0 offset:732 ; 4-byte Folded Reload
	buffer_load_dword v49, off, s[0:3], 0 offset:736 ; 4-byte Folded Reload
	buffer_load_dword v50, off, s[0:3], 0 offset:740 ; 4-byte Folded Reload
	buffer_load_dword v51, off, s[0:3], 0 offset:744 ; 4-byte Folded Reload
	buffer_load_dword v52, off, s[0:3], 0 offset:748 ; 4-byte Folded Reload
	buffer_load_dword v53, off, s[0:3], 0 offset:752 ; 4-byte Folded Reload
	s_waitcnt vmcnt(18)
	v_cndmask_b32_e64 v6, v6, v35, s[16:17]
	buffer_load_dword v22, off, s[0:3], 0 offset:500 ; 4-byte Folded Reload
	buffer_load_dword v23, off, s[0:3], 0 offset:504 ; 4-byte Folded Reload
	buffer_load_dword v24, off, s[0:3], 0 offset:508 ; 4-byte Folded Reload
	buffer_load_dword v25, off, s[0:3], 0 offset:512 ; 4-byte Folded Reload
	buffer_load_dword v26, off, s[0:3], 0 offset:516 ; 4-byte Folded Reload
	buffer_load_dword v27, off, s[0:3], 0 offset:520 ; 4-byte Folded Reload
	buffer_load_dword v28, off, s[0:3], 0 offset:524 ; 4-byte Folded Reload
	buffer_load_dword v29, off, s[0:3], 0 offset:528 ; 4-byte Folded Reload
	buffer_load_dword v30, off, s[0:3], 0 offset:532 ; 4-byte Folded Reload
	buffer_load_dword v31, off, s[0:3], 0 offset:536 ; 4-byte Folded Reload
	buffer_load_dword v32, off, s[0:3], 0 offset:540 ; 4-byte Folded Reload
	buffer_load_dword v33, off, s[0:3], 0 offset:544 ; 4-byte Folded Reload
	buffer_load_dword v34, off, s[0:3], 0 offset:548 ; 4-byte Folded Reload
	buffer_load_dword v35, off, s[0:3], 0 offset:552 ; 4-byte Folded Reload
	buffer_load_dword v36, off, s[0:3], 0 offset:556 ; 4-byte Folded Reload
	buffer_load_dword v37, off, s[0:3], 0 offset:560 ; 4-byte Folded Reload
	buffer_load_dword v38, off, s[0:3], 0 offset:564 ; 4-byte Folded Reload
	buffer_load_dword v39, off, s[0:3], 0 offset:568 ; 4-byte Folded Reload
	buffer_load_dword v40, off, s[0:3], 0 offset:572 ; 4-byte Folded Reload
	buffer_load_dword v41, off, s[0:3], 0 offset:576 ; 4-byte Folded Reload
	buffer_load_dword v42, off, s[0:3], 0 offset:580 ; 4-byte Folded Reload
	buffer_load_dword v43, off, s[0:3], 0 offset:584 ; 4-byte Folded Reload
	buffer_load_dword v44, off, s[0:3], 0 offset:588 ; 4-byte Folded Reload
	buffer_load_dword v45, off, s[0:3], 0 offset:592 ; 4-byte Folded Reload
	buffer_load_dword v46, off, s[0:3], 0 offset:596 ; 4-byte Folded Reload
	buffer_load_dword v47, off, s[0:3], 0 offset:600 ; 4-byte Folded Reload
	buffer_load_dword v48, off, s[0:3], 0 offset:604 ; 4-byte Folded Reload
	buffer_load_dword v49, off, s[0:3], 0 offset:608 ; 4-byte Folded Reload
	buffer_load_dword v50, off, s[0:3], 0 offset:612 ; 4-byte Folded Reload
	buffer_load_dword v51, off, s[0:3], 0 offset:616 ; 4-byte Folded Reload
	buffer_load_dword v52, off, s[0:3], 0 offset:620 ; 4-byte Folded Reload
	buffer_load_dword v53, off, s[0:3], 0 offset:624 ; 4-byte Folded Reload
	;; [unrolled: 34-line block ×5, first 2 shown]
	s_waitcnt vmcnt(14)
	v_cndmask_b32_e32 v7, v6, v39, vcc
	buffer_load_dword v22, off, s[0:3], 0 offset:884 ; 4-byte Folded Reload
	buffer_load_dword v23, off, s[0:3], 0 offset:888 ; 4-byte Folded Reload
	;; [unrolled: 1-line block ×32, first 2 shown]
	s_waitcnt vmcnt(15)
	v_cndmask_b32_e32 v6, v8, v38, vcc
	v_lshl_add_u32 v8, v123, 2, v13
	v_cmp_ngt_f64_e32 vcc, 0, v[6:7]
	buffer_load_dword v6, v8, s[0:3], 0 offen
                                        ; implicit-def: $vgpr7
	s_and_saveexec_b64 s[10:11], vcc
	s_xor_b64 s[10:11], exec, s[10:11]
	s_cbranch_execz .LBB0_61
; %bb.60:                               ;   in Loop: Header=BB0_59 Depth=1
	buffer_load_dword v7, off, s[0:3], 0 offset:96
                                        ; implicit-def: $vgpr8
	s_waitcnt vmcnt(0)
	v_cmp_eq_u32_e32 vcc, -1, v7
	v_mov_b32_e32 v7, 0x60
	s_and_b64 s[8:9], vcc, exec
.LBB0_61:                               ;   in Loop: Header=BB0_59 Depth=1
	s_andn2_saveexec_b64 s[10:11], s[10:11]
	s_cbranch_execz .LBB0_63
; %bb.62:                               ;   in Loop: Header=BB0_59 Depth=1
	buffer_load_dword v9, off, s[0:3], 0 offset:100
	v_mov_b32_e32 v7, 0x64
	s_or_b64 s[8:9], s[8:9], exec
	s_waitcnt vmcnt(0)
	buffer_store_dword v9, v8, s[0:3], 0 offen
.LBB0_63:                               ;   in Loop: Header=BB0_59 Depth=1
	s_or_b64 exec, exec, s[10:11]
	s_mov_b64 s[10:11], exec
	buffer_load_dword v22, off, s[0:3], 0 offset:3316 ; 4-byte Folded Reload
	buffer_load_dword v23, off, s[0:3], 0 offset:3320 ; 4-byte Folded Reload
	;; [unrolled: 1-line block ×32, first 2 shown]
	s_and_b64 s[8:9], s[10:11], s[8:9]
	s_waitcnt vmcnt(14)
	v_mov_b32_e32 v31, v39
	s_mov_b64 exec, s[8:9]
	s_cbranch_execz .LBB0_58
; %bb.64:                               ;   in Loop: Header=BB0_59 Depth=1
	buffer_store_dword v123, v7, s[0:3], 0 offen
	s_branch .LBB0_58
.LBB0_65:
	s_or_b64 exec, exec, s[20:21]
	s_and_saveexec_b64 s[8:9], s[6:7]
	s_cbranch_execz .LBB0_67
; %bb.66:
	v_cmp_gt_f64_e32 vcc, 0, v[132:133]
	v_mov_b32_e32 v2, 16
	v_cmp_gt_f64_e64 s[6:7], 0, v[138:139]
	s_and_b64 s[4:5], s[4:5], vcc
	v_lshl_add_u32 v3, v124, 2, v2
	s_or_b64 s[4:5], s[6:7], s[4:5]
	v_lshl_add_u32 v6, v126, 2, v2
	v_cndmask_b32_e64 v4, v125, -1, s[4:5]
	v_lshl_add_u32 v2, v21, 2, v2
	buffer_store_dword v126, v3, s[0:3], 0 offen offset:40
	buffer_store_dword v21, v6, s[0:3], 0 offen offset:40
	;; [unrolled: 1-line block ×3, first 2 shown]
.LBB0_67:
	s_or_b64 exec, exec, s[8:9]
	buffer_load_dword v2, off, s[0:3], 0 offset:60
	buffer_load_dword v3, off, s[0:3], 0 offset:64
	;; [unrolled: 1-line block ×7, first 2 shown]
	v_pk_mov_b32 v[82:83], -1, -1
	v_mov_b32_e32 v128, -1
	v_mov_b32_e32 v129, -1
	v_pk_mov_b32 v[148:149], 0, 0
	v_pk_mov_b32 v[8:9], v[82:83], v[82:83] op_sel:[0,1]
	s_waitcnt vmcnt(6)
	buffer_store_dword v2, off, s[0:3], 0 offset:20
	s_waitcnt vmcnt(2)
	buffer_store_dword v7, off, s[0:3], 0 offset:16
	buffer_store_dword v4, off, s[0:3], 0 offset:28
	;; [unrolled: 1-line block ×5, first 2 shown]
	buffer_load_dword v2, off, s[0:3], 0 offset:88
	s_nop 0
	buffer_load_dword v3, off, s[0:3], 0 offset:84
	buffer_load_dword v4, off, s[0:3], 0 offset:80
	s_waitcnt vmcnt(1)
	buffer_store_dword v3, off, s[0:3], 0 offset:44
	s_waitcnt vmcnt(1)
	buffer_store_dword v4, off, s[0:3], 0 offset:40
	buffer_store_dword v2, off, s[0:3], 0 offset:48
	buffer_load_dword v113, off, s[0:3], 0 offset:96
	buffer_load_dword v32, off, s[0:3], 0 offset:3828 ; 4-byte Folded Reload
	buffer_load_dword v33, off, s[0:3], 0 offset:3832 ; 4-byte Folded Reload
	;; [unrolled: 1-line block ×32, first 2 shown]
	s_waitcnt vmcnt(32)
	v_cmp_eq_u32_e32 vcc, 1, v113
	v_cndmask_b32_e32 v2, v163, v161, vcc
	v_cmp_eq_u32_e64 s[4:5], 2, v113
	v_cndmask_b32_e64 v2, v2, v165, s[4:5]
	v_cmp_eq_u32_e64 s[6:7], 3, v113
	v_cndmask_b32_e64 v2, v2, v101, s[6:7]
	v_cndmask_b32_e32 v3, v162, v160, vcc
	v_cmp_eq_u32_e32 vcc, 4, v113
	v_cndmask_b32_e64 v3, v3, v164, s[4:5]
	v_cndmask_b32_e32 v2, v2, v135, vcc
	v_cmp_eq_u32_e64 s[4:5], 5, v113
	s_waitcnt vmcnt(20)
	v_cndmask_b32_e64 v2, v2, v43, s[4:5]
	buffer_load_dword v32, off, s[0:3], 0 offset:3700 ; 4-byte Folded Reload
	buffer_load_dword v33, off, s[0:3], 0 offset:3704 ; 4-byte Folded Reload
	;; [unrolled: 1-line block ×32, first 2 shown]
	v_cndmask_b32_e64 v3, v3, v100, s[6:7]
	v_cndmask_b32_e32 v3, v3, v134, vcc
	v_cmp_eq_u32_e32 vcc, 6, v113
	s_mov_b32 s6, 0x41d00
	s_waitcnt vmcnt(18)
	v_cndmask_b32_e32 v2, v2, v45, vcc
	buffer_load_dword v32, off, s[0:3], s6  ; 4-byte Folded Reload
	buffer_load_dword v33, off, s[0:3], s6 offset:4 ; 4-byte Folded Reload
	buffer_load_dword v34, off, s[0:3], s6 offset:8 ; 4-byte Folded Reload
	;; [unrolled: 1-line block ×31, first 2 shown]
	s_mov_b32 s6, 0x3fd00
	s_waitcnt vmcnt(21)
	v_cndmask_b32_e64 v3, v3, v42, s[4:5]
	buffer_load_dword v32, off, s[0:3], 0 offset:3572 ; 4-byte Folded Reload
	buffer_load_dword v33, off, s[0:3], 0 offset:3576 ; 4-byte Folded Reload
	;; [unrolled: 1-line block ×32, first 2 shown]
	v_cmp_eq_u32_e64 s[4:5], 7, v113
	s_waitcnt vmcnt(16)
	v_cndmask_b32_e64 v2, v2, v47, s[4:5]
	buffer_load_dword v32, off, s[0:3], s6  ; 4-byte Folded Reload
	buffer_load_dword v33, off, s[0:3], s6 offset:4 ; 4-byte Folded Reload
	buffer_load_dword v34, off, s[0:3], s6 offset:8 ; 4-byte Folded Reload
	;; [unrolled: 1-line block ×31, first 2 shown]
	s_waitcnt vmcnt(19)
	v_cndmask_b32_e32 v3, v3, v44, vcc
	buffer_load_dword v32, off, s[0:3], 0 offset:3956 ; 4-byte Folded Reload
	buffer_load_dword v33, off, s[0:3], 0 offset:3960 ; 4-byte Folded Reload
	;; [unrolled: 1-line block ×32, first 2 shown]
	v_cmp_eq_u32_e32 vcc, 8, v113
	v_cndmask_b32_e32 v151, v2, v31, vcc
	s_waitcnt vmcnt(17)
	v_cndmask_b32_e64 v3, v3, v46, s[4:5]
	s_mov_b32 s4, 0x43d00
	buffer_load_dword v32, off, s[0:3], s4  ; 4-byte Folded Reload
	buffer_load_dword v33, off, s[0:3], s4 offset:4 ; 4-byte Folded Reload
	buffer_load_dword v34, off, s[0:3], s4 offset:8 ; 4-byte Folded Reload
	;; [unrolled: 1-line block ×31, first 2 shown]
	v_cmp_lt_i32_e64 s[4:5], -1, v113
	buffer_store_dword v113, off, s[0:3], 0 offset:104
	buffer_store_dword v124, off, s[0:3], 0 offset:108
	s_waitcnt vmcnt(17)
	v_cndmask_b32_e32 v150, v3, v48, vcc
	s_and_saveexec_b64 s[14:15], s[4:5]
	s_cbranch_execz .LBB0_71
; %bb.68:
	buffer_load_dword v32, off, s[0:3], 0 offset:3572 ; 4-byte Folded Reload
	buffer_load_dword v33, off, s[0:3], 0 offset:3576 ; 4-byte Folded Reload
	;; [unrolled: 1-line block ×32, first 2 shown]
	s_mov_b32 s6, 0x43d00
	s_mov_b64 s[16:17], 0
	v_mov_b32_e32 v128, -1
	v_mov_b32_e32 v7, v113
	v_mov_b32_e32 v82, -1
	v_mov_b32_e32 v8, -1
	;; [unrolled: 1-line block ×3, first 2 shown]
	v_pk_mov_b32 v[10:11], v[150:151], v[150:151] op_sel:[0,1]
	s_waitcnt vmcnt(16)
	v_mov_b32_e32 v15, v47
	buffer_load_dword v32, off, s[0:3], 0 offset:3700 ; 4-byte Folded Reload
	buffer_load_dword v33, off, s[0:3], 0 offset:3704 ; 4-byte Folded Reload
	;; [unrolled: 1-line block ×32, first 2 shown]
	s_waitcnt vmcnt(18)
	v_mov_b32_e32 v17, v45
	buffer_load_dword v32, off, s[0:3], 0 offset:3828 ; 4-byte Folded Reload
	buffer_load_dword v33, off, s[0:3], 0 offset:3832 ; 4-byte Folded Reload
	;; [unrolled: 1-line block ×32, first 2 shown]
	s_waitcnt vmcnt(20)
	v_mov_b32_e32 v19, v43
	buffer_load_dword v32, off, s[0:3], s6  ; 4-byte Folded Reload
	buffer_load_dword v33, off, s[0:3], s6 offset:4 ; 4-byte Folded Reload
	buffer_load_dword v34, off, s[0:3], s6 offset:8 ; 4-byte Folded Reload
	;; [unrolled: 1-line block ×31, first 2 shown]
	s_mov_b32 s6, 0x3fd00
	s_waitcnt vmcnt(15)
	v_mov_b32_e32 v16, v48
	buffer_load_dword v32, off, s[0:3], 0 offset:3956 ; 4-byte Folded Reload
	buffer_load_dword v33, off, s[0:3], 0 offset:3960 ; 4-byte Folded Reload
	;; [unrolled: 1-line block ×32, first 2 shown]
	s_waitcnt vmcnt(17)
	v_mov_b32_e32 v18, v46
	buffer_load_dword v32, off, s[0:3], s6  ; 4-byte Folded Reload
	buffer_load_dword v33, off, s[0:3], s6 offset:4 ; 4-byte Folded Reload
	buffer_load_dword v34, off, s[0:3], s6 offset:8 ; 4-byte Folded Reload
	;; [unrolled: 1-line block ×31, first 2 shown]
	s_mov_b32 s6, 0x41d00
	s_waitcnt vmcnt(19)
	v_mov_b32_e32 v20, v44
	buffer_load_dword v32, off, s[0:3], s6  ; 4-byte Folded Reload
	buffer_load_dword v33, off, s[0:3], s6 offset:4 ; 4-byte Folded Reload
	buffer_load_dword v34, off, s[0:3], s6 offset:8 ; 4-byte Folded Reload
	;; [unrolled: 1-line block ×31, first 2 shown]
	s_waitcnt vmcnt(21)
	v_mov_b32_e32 v22, v42
.LBB0_69:                               ; =>This Inner Loop Header: Depth=1
	s_waitcnt vmcnt(0)
	v_lshl_add_u32 v2, v7, 2, v13
	buffer_load_dword v9, v2, s[0:3], 0 offen
	v_pk_mov_b32 v[148:149], v[10:11], v[10:11] op_sel:[0,1]
	s_waitcnt vmcnt(0)
	v_cmp_gt_i32_e32 vcc, 0, v9
	v_cndmask_b32_e32 v14, v9, v113, vcc
	v_cmp_eq_u32_e64 s[6:7], 1, v14
	v_cndmask_b32_e64 v2, v163, v161, s[6:7]
	v_cmp_eq_u32_e64 s[8:9], 2, v14
	v_cndmask_b32_e64 v3, v162, v160, s[6:7]
	v_cndmask_b32_e64 v2, v2, v165, s[8:9]
	v_cmp_eq_u32_e64 s[10:11], 3, v14
	v_cndmask_b32_e64 v3, v3, v164, s[8:9]
	;; [unrolled: 3-line block ×6, first 2 shown]
	v_cndmask_b32_e64 v2, v2, v15, s[8:9]
	v_cndmask_b32_e64 v3, v3, v18, s[8:9]
	v_cmp_eq_u32_e64 s[6:7], 8, v14
	v_cndmask_b32_e64 v13, v2, v31, s[6:7]
	v_cndmask_b32_e64 v12, v3, v16, s[6:7]
	v_cmp_gt_f64_e64 s[10:11], 0, v[12:13]
	v_cmp_le_f64_e64 s[12:13], 0, v[12:13]
	v_pk_mov_b32 v[10:11], v[12:13], v[12:13] op_sel:[0,1]
	buffer_load_dword v13, off, s[0:3], 0 offset:112 ; 4-byte Folded Reload
	v_cmp_le_f64_e64 s[6:7], 0, v[148:149]
	v_cmp_gt_f64_e64 s[8:9], 0, v[148:149]
	s_and_b64 s[6:7], s[6:7], s[10:11]
	s_and_b64 s[8:9], s[8:9], s[12:13]
	v_cndmask_b32_e64 v8, v8, v14, s[6:7]
	v_cndmask_b32_e64 v129, v129, v14, s[8:9]
	;; [unrolled: 1-line block ×4, first 2 shown]
	s_or_b64 s[16:17], vcc, s[16:17]
	v_mov_b32_e32 v7, v9
	s_andn2_b64 exec, exec, s[16:17]
	s_cbranch_execnz .LBB0_69
; %bb.70:
	s_or_b64 exec, exec, s[16:17]
.LBB0_71:
	s_or_b64 exec, exec, s[14:15]
	v_pk_mov_b32 v[122:123], v[76:77], v[76:77] op_sel:[0,1]
	v_cmp_lt_i32_e64 s[6:7], -1, v128
	v_mov_b32_e32 v130, -1
	v_mov_b32_e32 v7, -1
	;; [unrolled: 1-line block ×3, first 2 shown]
	s_and_saveexec_b64 s[58:59], s[6:7]
	s_cbranch_execz .LBB0_73
; %bb.72:
	buffer_load_dword v32, off, s[0:3], 0 offset:3828 ; 4-byte Folded Reload
	buffer_load_dword v33, off, s[0:3], 0 offset:3832 ; 4-byte Folded Reload
	;; [unrolled: 1-line block ×32, first 2 shown]
	s_mov_b32 s24, 0x41d00
	v_cmp_eq_u32_e64 s[8:9], 1, v8
	v_cndmask_b32_e64 v7, v163, v161, s[8:9]
	v_cmp_eq_u32_e64 s[10:11], 2, v8
	v_cndmask_b32_e64 v7, v7, v165, s[10:11]
	;; [unrolled: 2-line block ×4, first 2 shown]
	v_cmp_eq_u32_e64 s[16:17], 5, v8
	v_cmp_eq_u32_e64 s[18:19], 6, v8
	;; [unrolled: 1-line block ×11, first 2 shown]
	v_mov_b32_e32 v91, v31
	v_cndmask_b32_e64 v8, v162, v160, s[8:9]
	v_cndmask_b32_e64 v8, v8, v164, s[10:11]
	;; [unrolled: 1-line block ×4, first 2 shown]
	v_cmp_eq_u32_e64 s[50:51], 5, v124
	v_cmp_eq_u32_e64 s[44:45], 8, v124
	;; [unrolled: 1-line block ×4, first 2 shown]
	s_waitcnt vmcnt(20)
	v_mov_b32_e32 v97, v43
	buffer_load_dword v32, off, s[0:3], 0 offset:3700 ; 4-byte Folded Reload
	buffer_load_dword v33, off, s[0:3], 0 offset:3704 ; 4-byte Folded Reload
	;; [unrolled: 1-line block ×32, first 2 shown]
	v_cndmask_b32_e64 v7, v7, v97, s[16:17]
	s_waitcnt vmcnt(18)
	v_mov_b32_e32 v95, v45
	buffer_load_dword v32, off, s[0:3], 0 offset:3572 ; 4-byte Folded Reload
	buffer_load_dword v33, off, s[0:3], 0 offset:3576 ; 4-byte Folded Reload
	;; [unrolled: 1-line block ×32, first 2 shown]
	v_cndmask_b32_e64 v7, v7, v95, s[18:19]
	s_waitcnt vmcnt(16)
	v_mov_b32_e32 v93, v47
	buffer_load_dword v32, off, s[0:3], s24 ; 4-byte Folded Reload
	buffer_load_dword v33, off, s[0:3], s24 offset:4 ; 4-byte Folded Reload
	buffer_load_dword v34, off, s[0:3], s24 offset:8 ; 4-byte Folded Reload
	;; [unrolled: 1-line block ×31, first 2 shown]
	s_mov_b32 s24, 0x3fd00
	v_cndmask_b32_e64 v7, v7, v93, s[20:21]
	v_cndmask_b32_e64 v77, v7, v31, s[22:23]
	s_waitcnt vmcnt(21)
	v_mov_b32_e32 v94, v42
	buffer_load_dword v32, off, s[0:3], s24 ; 4-byte Folded Reload
	buffer_load_dword v33, off, s[0:3], s24 offset:4 ; 4-byte Folded Reload
	buffer_load_dword v34, off, s[0:3], s24 offset:8 ; 4-byte Folded Reload
	;; [unrolled: 1-line block ×31, first 2 shown]
	s_mov_b32 s24, 0x43d00
	v_cndmask_b32_e64 v8, v8, v94, s[16:17]
	s_waitcnt vmcnt(19)
	v_mov_b32_e32 v92, v44
	buffer_load_dword v32, off, s[0:3], 0 offset:3956 ; 4-byte Folded Reload
	buffer_load_dword v33, off, s[0:3], 0 offset:3960 ; 4-byte Folded Reload
	;; [unrolled: 1-line block ×32, first 2 shown]
	v_cndmask_b32_e64 v8, v8, v92, s[18:19]
	s_waitcnt vmcnt(17)
	v_mov_b32_e32 v90, v46
	buffer_load_dword v32, off, s[0:3], s24 ; 4-byte Folded Reload
	buffer_load_dword v33, off, s[0:3], s24 offset:4 ; 4-byte Folded Reload
	buffer_load_dword v34, off, s[0:3], s24 offset:8 ; 4-byte Folded Reload
	;; [unrolled: 1-line block ×31, first 2 shown]
	v_cmp_eq_u32_e64 s[24:25], 1, v128
	v_cndmask_b32_e64 v7, v163, v161, s[24:25]
	v_cndmask_b32_e64 v7, v7, v165, s[26:27]
	;; [unrolled: 1-line block ×18, first 2 shown]
	s_waitcnt vmcnt(15)
	v_mov_b32_e32 v78, v48
	buffer_load_dword v40, off, s[0:3], 0 offset:116 ; 4-byte Folded Reload
	buffer_load_dword v41, off, s[0:3], 0 offset:120 ; 4-byte Folded Reload
	buffer_load_dword v42, off, s[0:3], 0 offset:124 ; 4-byte Folded Reload
	buffer_load_dword v43, off, s[0:3], 0 offset:128 ; 4-byte Folded Reload
	buffer_load_dword v44, off, s[0:3], 0 offset:132 ; 4-byte Folded Reload
	buffer_load_dword v45, off, s[0:3], 0 offset:136 ; 4-byte Folded Reload
	buffer_load_dword v46, off, s[0:3], 0 offset:140 ; 4-byte Folded Reload
	buffer_load_dword v47, off, s[0:3], 0 offset:144 ; 4-byte Folded Reload
	buffer_load_dword v48, off, s[0:3], 0 offset:148 ; 4-byte Folded Reload
	buffer_load_dword v49, off, s[0:3], 0 offset:152 ; 4-byte Folded Reload
	buffer_load_dword v50, off, s[0:3], 0 offset:156 ; 4-byte Folded Reload
	buffer_load_dword v51, off, s[0:3], 0 offset:160 ; 4-byte Folded Reload
	buffer_load_dword v52, off, s[0:3], 0 offset:164 ; 4-byte Folded Reload
	buffer_load_dword v53, off, s[0:3], 0 offset:168 ; 4-byte Folded Reload
	buffer_load_dword v54, off, s[0:3], 0 offset:172 ; 4-byte Folded Reload
	buffer_load_dword v55, off, s[0:3], 0 offset:176 ; 4-byte Folded Reload
	buffer_load_dword v56, off, s[0:3], 0 offset:180 ; 4-byte Folded Reload
	buffer_load_dword v57, off, s[0:3], 0 offset:184 ; 4-byte Folded Reload
	buffer_load_dword v58, off, s[0:3], 0 offset:188 ; 4-byte Folded Reload
	buffer_load_dword v59, off, s[0:3], 0 offset:192 ; 4-byte Folded Reload
	buffer_load_dword v60, off, s[0:3], 0 offset:196 ; 4-byte Folded Reload
	buffer_load_dword v61, off, s[0:3], 0 offset:200 ; 4-byte Folded Reload
	buffer_load_dword v62, off, s[0:3], 0 offset:204 ; 4-byte Folded Reload
	buffer_load_dword v63, off, s[0:3], 0 offset:208 ; 4-byte Folded Reload
	buffer_load_dword v64, off, s[0:3], 0 offset:212 ; 4-byte Folded Reload
	buffer_load_dword v65, off, s[0:3], 0 offset:216 ; 4-byte Folded Reload
	buffer_load_dword v66, off, s[0:3], 0 offset:220 ; 4-byte Folded Reload
	buffer_load_dword v67, off, s[0:3], 0 offset:224 ; 4-byte Folded Reload
	buffer_load_dword v68, off, s[0:3], 0 offset:228 ; 4-byte Folded Reload
	buffer_load_dword v69, off, s[0:3], 0 offset:232 ; 4-byte Folded Reload
	buffer_load_dword v70, off, s[0:3], 0 offset:236 ; 4-byte Folded Reload
	buffer_load_dword v71, off, s[0:3], 0 offset:240 ; 4-byte Folded Reload
	v_cndmask_b32_e64 v76, v8, v78, s[22:23]
	v_cndmask_b32_e64 v72, v10, v78, s[42:43]
	v_add_f64 v[12:13], -v[76:77], 0
	v_add_f64 v[14:15], v[72:73], -v[76:77]
	v_div_scale_f64 v[16:17], s[40:41], v[14:15], v[14:15], v[12:13]
	v_rcp_f64_e32 v[22:23], v[16:17]
	v_cmp_eq_u32_e64 s[40:41], 3, v124
	s_waitcnt vmcnt(2)
	v_pk_mov_b32 v[68:69], v[114:115], v[114:115] op_sel:[0,1]
	v_fma_f64 v[24:25], -v[16:17], v[22:23], 1.0
	v_fmac_f64_e32 v[22:23], v[22:23], v[24:25]
	v_fma_f64 v[24:25], -v[16:17], v[22:23], 1.0
	v_fmac_f64_e32 v[22:23], v[22:23], v[24:25]
	v_div_scale_f64 v[24:25], vcc, v[12:13], v[14:15], v[12:13]
	v_mul_f64 v[26:27], v[24:25], v[22:23]
	v_fma_f64 v[16:17], -v[16:17], v[26:27], v[24:25]
	v_pk_mov_b32 v[30:31], v[46:47], v[46:47] op_sel:[0,1]
	buffer_load_dword v32, off, s[0:3], 0 offset:2676 ; 4-byte Folded Reload
	buffer_load_dword v33, off, s[0:3], 0 offset:2680 ; 4-byte Folded Reload
	;; [unrolled: 1-line block ×32, first 2 shown]
	v_div_fmas_f64 v[16:17], v[16:17], v[22:23], v[26:27]
	v_div_fixup_f64 v[74:75], v[16:17], v[14:15], v[12:13]
	v_cndmask_b32_e64 v7, v7, v31, s[28:29]
	v_cndmask_b32_e64 v7, v7, v117, s[30:31]
	;; [unrolled: 1-line block ×10, first 2 shown]
	v_add_f64 v[88:89], -v[74:75], 1.0
	v_cmp_eq_u32_e32 vcc, 4, v124
	s_waitcnt vmcnt(20)
	v_mov_b32_e32 v11, v43
	buffer_load_dword v32, off, s[0:3], 0 offset:2548 ; 4-byte Folded Reload
	buffer_load_dword v33, off, s[0:3], 0 offset:2552 ; 4-byte Folded Reload
	buffer_load_dword v34, off, s[0:3], 0 offset:2556 ; 4-byte Folded Reload
	buffer_load_dword v35, off, s[0:3], 0 offset:2560 ; 4-byte Folded Reload
	buffer_load_dword v36, off, s[0:3], 0 offset:2564 ; 4-byte Folded Reload
	buffer_load_dword v37, off, s[0:3], 0 offset:2568 ; 4-byte Folded Reload
	buffer_load_dword v38, off, s[0:3], 0 offset:2572 ; 4-byte Folded Reload
	buffer_load_dword v39, off, s[0:3], 0 offset:2576 ; 4-byte Folded Reload
	buffer_load_dword v40, off, s[0:3], 0 offset:2580 ; 4-byte Folded Reload
	buffer_load_dword v41, off, s[0:3], 0 offset:2584 ; 4-byte Folded Reload
	buffer_load_dword v42, off, s[0:3], 0 offset:2588 ; 4-byte Folded Reload
	buffer_load_dword v43, off, s[0:3], 0 offset:2592 ; 4-byte Folded Reload
	buffer_load_dword v44, off, s[0:3], 0 offset:2596 ; 4-byte Folded Reload
	buffer_load_dword v45, off, s[0:3], 0 offset:2600 ; 4-byte Folded Reload
	buffer_load_dword v46, off, s[0:3], 0 offset:2604 ; 4-byte Folded Reload
	buffer_load_dword v47, off, s[0:3], 0 offset:2608 ; 4-byte Folded Reload
	buffer_load_dword v48, off, s[0:3], 0 offset:2612 ; 4-byte Folded Reload
	buffer_load_dword v49, off, s[0:3], 0 offset:2616 ; 4-byte Folded Reload
	buffer_load_dword v50, off, s[0:3], 0 offset:2620 ; 4-byte Folded Reload
	buffer_load_dword v51, off, s[0:3], 0 offset:2624 ; 4-byte Folded Reload
	buffer_load_dword v52, off, s[0:3], 0 offset:2628 ; 4-byte Folded Reload
	buffer_load_dword v53, off, s[0:3], 0 offset:2632 ; 4-byte Folded Reload
	buffer_load_dword v54, off, s[0:3], 0 offset:2636 ; 4-byte Folded Reload
	buffer_load_dword v55, off, s[0:3], 0 offset:2640 ; 4-byte Folded Reload
	buffer_load_dword v56, off, s[0:3], 0 offset:2644 ; 4-byte Folded Reload
	buffer_load_dword v57, off, s[0:3], 0 offset:2648 ; 4-byte Folded Reload
	buffer_load_dword v58, off, s[0:3], 0 offset:2652 ; 4-byte Folded Reload
	buffer_load_dword v59, off, s[0:3], 0 offset:2656 ; 4-byte Folded Reload
	buffer_load_dword v60, off, s[0:3], 0 offset:2660 ; 4-byte Folded Reload
	buffer_load_dword v61, off, s[0:3], 0 offset:2664 ; 4-byte Folded Reload
	buffer_load_dword v62, off, s[0:3], 0 offset:2668 ; 4-byte Folded Reload
	buffer_load_dword v63, off, s[0:3], 0 offset:2672 ; 4-byte Folded Reload
	v_cndmask_b32_e64 v7, v7, v11, s[34:35]
	s_waitcnt vmcnt(18)
	v_mov_b32_e32 v21, v45
	buffer_load_dword v32, off, s[0:3], 0 offset:2420 ; 4-byte Folded Reload
	buffer_load_dword v33, off, s[0:3], 0 offset:2424 ; 4-byte Folded Reload
	buffer_load_dword v34, off, s[0:3], 0 offset:2428 ; 4-byte Folded Reload
	buffer_load_dword v35, off, s[0:3], 0 offset:2432 ; 4-byte Folded Reload
	buffer_load_dword v36, off, s[0:3], 0 offset:2436 ; 4-byte Folded Reload
	buffer_load_dword v37, off, s[0:3], 0 offset:2440 ; 4-byte Folded Reload
	buffer_load_dword v38, off, s[0:3], 0 offset:2444 ; 4-byte Folded Reload
	buffer_load_dword v39, off, s[0:3], 0 offset:2448 ; 4-byte Folded Reload
	buffer_load_dword v40, off, s[0:3], 0 offset:2452 ; 4-byte Folded Reload
	buffer_load_dword v41, off, s[0:3], 0 offset:2456 ; 4-byte Folded Reload
	buffer_load_dword v42, off, s[0:3], 0 offset:2460 ; 4-byte Folded Reload
	buffer_load_dword v43, off, s[0:3], 0 offset:2464 ; 4-byte Folded Reload
	buffer_load_dword v44, off, s[0:3], 0 offset:2468 ; 4-byte Folded Reload
	buffer_load_dword v45, off, s[0:3], 0 offset:2472 ; 4-byte Folded Reload
	buffer_load_dword v46, off, s[0:3], 0 offset:2476 ; 4-byte Folded Reload
	buffer_load_dword v47, off, s[0:3], 0 offset:2480 ; 4-byte Folded Reload
	buffer_load_dword v48, off, s[0:3], 0 offset:2484 ; 4-byte Folded Reload
	buffer_load_dword v49, off, s[0:3], 0 offset:2488 ; 4-byte Folded Reload
	buffer_load_dword v50, off, s[0:3], 0 offset:2492 ; 4-byte Folded Reload
	buffer_load_dword v51, off, s[0:3], 0 offset:2496 ; 4-byte Folded Reload
	buffer_load_dword v52, off, s[0:3], 0 offset:2500 ; 4-byte Folded Reload
	buffer_load_dword v53, off, s[0:3], 0 offset:2504 ; 4-byte Folded Reload
	buffer_load_dword v54, off, s[0:3], 0 offset:2508 ; 4-byte Folded Reload
	buffer_load_dword v55, off, s[0:3], 0 offset:2512 ; 4-byte Folded Reload
	buffer_load_dword v56, off, s[0:3], 0 offset:2516 ; 4-byte Folded Reload
	buffer_load_dword v57, off, s[0:3], 0 offset:2520 ; 4-byte Folded Reload
	buffer_load_dword v58, off, s[0:3], 0 offset:2524 ; 4-byte Folded Reload
	buffer_load_dword v59, off, s[0:3], 0 offset:2528 ; 4-byte Folded Reload
	buffer_load_dword v60, off, s[0:3], 0 offset:2532 ; 4-byte Folded Reload
	buffer_load_dword v61, off, s[0:3], 0 offset:2536 ; 4-byte Folded Reload
	buffer_load_dword v62, off, s[0:3], 0 offset:2540 ; 4-byte Folded Reload
	buffer_load_dword v63, off, s[0:3], 0 offset:2544 ; 4-byte Folded Reload
	v_cndmask_b32_e64 v7, v7, v21, s[36:37]
	;; [unrolled: 35-line block ×4, first 2 shown]
	v_cndmask_b32_e64 v12, v12, v10, s[34:35]
	s_waitcnt vmcnt(19)
	v_mov_b32_e32 v20, v44
	buffer_load_dword v32, off, s[0:3], 0 offset:2932 ; 4-byte Folded Reload
	buffer_load_dword v33, off, s[0:3], 0 offset:2936 ; 4-byte Folded Reload
	buffer_load_dword v34, off, s[0:3], 0 offset:2940 ; 4-byte Folded Reload
	buffer_load_dword v35, off, s[0:3], 0 offset:2944 ; 4-byte Folded Reload
	buffer_load_dword v36, off, s[0:3], 0 offset:2948 ; 4-byte Folded Reload
	buffer_load_dword v37, off, s[0:3], 0 offset:2952 ; 4-byte Folded Reload
	buffer_load_dword v38, off, s[0:3], 0 offset:2956 ; 4-byte Folded Reload
	buffer_load_dword v39, off, s[0:3], 0 offset:2960 ; 4-byte Folded Reload
	buffer_load_dword v40, off, s[0:3], 0 offset:2964 ; 4-byte Folded Reload
	buffer_load_dword v41, off, s[0:3], 0 offset:2968 ; 4-byte Folded Reload
	buffer_load_dword v42, off, s[0:3], 0 offset:2972 ; 4-byte Folded Reload
	buffer_load_dword v43, off, s[0:3], 0 offset:2976 ; 4-byte Folded Reload
	buffer_load_dword v44, off, s[0:3], 0 offset:2980 ; 4-byte Folded Reload
	buffer_load_dword v45, off, s[0:3], 0 offset:2984 ; 4-byte Folded Reload
	buffer_load_dword v46, off, s[0:3], 0 offset:2988 ; 4-byte Folded Reload
	buffer_load_dword v47, off, s[0:3], 0 offset:2992 ; 4-byte Folded Reload
	buffer_load_dword v48, off, s[0:3], 0 offset:2996 ; 4-byte Folded Reload
	buffer_load_dword v49, off, s[0:3], 0 offset:3000 ; 4-byte Folded Reload
	buffer_load_dword v50, off, s[0:3], 0 offset:3004 ; 4-byte Folded Reload
	buffer_load_dword v51, off, s[0:3], 0 offset:3008 ; 4-byte Folded Reload
	buffer_load_dword v52, off, s[0:3], 0 offset:3012 ; 4-byte Folded Reload
	buffer_load_dword v53, off, s[0:3], 0 offset:3016 ; 4-byte Folded Reload
	buffer_load_dword v54, off, s[0:3], 0 offset:3020 ; 4-byte Folded Reload
	buffer_load_dword v55, off, s[0:3], 0 offset:3024 ; 4-byte Folded Reload
	buffer_load_dword v56, off, s[0:3], 0 offset:3028 ; 4-byte Folded Reload
	buffer_load_dword v57, off, s[0:3], 0 offset:3032 ; 4-byte Folded Reload
	buffer_load_dword v58, off, s[0:3], 0 offset:3036 ; 4-byte Folded Reload
	buffer_load_dword v59, off, s[0:3], 0 offset:3040 ; 4-byte Folded Reload
	buffer_load_dword v60, off, s[0:3], 0 offset:3044 ; 4-byte Folded Reload
	buffer_load_dword v61, off, s[0:3], 0 offset:3048 ; 4-byte Folded Reload
	buffer_load_dword v62, off, s[0:3], 0 offset:3052 ; 4-byte Folded Reload
	buffer_load_dword v63, off, s[0:3], 0 offset:3056 ; 4-byte Folded Reload
	v_cndmask_b32_e64 v16, v16, v20, s[18:19]
	v_cndmask_b32_e64 v12, v12, v20, s[36:37]
	s_waitcnt vmcnt(17)
	v_mov_b32_e32 v14, v46
	buffer_load_dword v32, off, s[0:3], 0 offset:2292 ; 4-byte Folded Reload
	buffer_load_dword v33, off, s[0:3], 0 offset:2296 ; 4-byte Folded Reload
	buffer_load_dword v34, off, s[0:3], 0 offset:2300 ; 4-byte Folded Reload
	buffer_load_dword v35, off, s[0:3], 0 offset:2304 ; 4-byte Folded Reload
	buffer_load_dword v36, off, s[0:3], 0 offset:2308 ; 4-byte Folded Reload
	buffer_load_dword v37, off, s[0:3], 0 offset:2312 ; 4-byte Folded Reload
	buffer_load_dword v38, off, s[0:3], 0 offset:2316 ; 4-byte Folded Reload
	buffer_load_dword v39, off, s[0:3], 0 offset:2320 ; 4-byte Folded Reload
	buffer_load_dword v40, off, s[0:3], 0 offset:2324 ; 4-byte Folded Reload
	buffer_load_dword v41, off, s[0:3], 0 offset:2328 ; 4-byte Folded Reload
	buffer_load_dword v42, off, s[0:3], 0 offset:2332 ; 4-byte Folded Reload
	buffer_load_dword v43, off, s[0:3], 0 offset:2336 ; 4-byte Folded Reload
	buffer_load_dword v44, off, s[0:3], 0 offset:2340 ; 4-byte Folded Reload
	buffer_load_dword v45, off, s[0:3], 0 offset:2344 ; 4-byte Folded Reload
	buffer_load_dword v46, off, s[0:3], 0 offset:2348 ; 4-byte Folded Reload
	buffer_load_dword v47, off, s[0:3], 0 offset:2352 ; 4-byte Folded Reload
	buffer_load_dword v48, off, s[0:3], 0 offset:2356 ; 4-byte Folded Reload
	buffer_load_dword v49, off, s[0:3], 0 offset:2360 ; 4-byte Folded Reload
	buffer_load_dword v50, off, s[0:3], 0 offset:2364 ; 4-byte Folded Reload
	buffer_load_dword v51, off, s[0:3], 0 offset:2368 ; 4-byte Folded Reload
	buffer_load_dword v52, off, s[0:3], 0 offset:2372 ; 4-byte Folded Reload
	buffer_load_dword v53, off, s[0:3], 0 offset:2376 ; 4-byte Folded Reload
	buffer_load_dword v54, off, s[0:3], 0 offset:2380 ; 4-byte Folded Reload
	buffer_load_dword v55, off, s[0:3], 0 offset:2384 ; 4-byte Folded Reload
	buffer_load_dword v56, off, s[0:3], 0 offset:2388 ; 4-byte Folded Reload
	buffer_load_dword v57, off, s[0:3], 0 offset:2392 ; 4-byte Folded Reload
	buffer_load_dword v58, off, s[0:3], 0 offset:2396 ; 4-byte Folded Reload
	buffer_load_dword v59, off, s[0:3], 0 offset:2400 ; 4-byte Folded Reload
	buffer_load_dword v60, off, s[0:3], 0 offset:2404 ; 4-byte Folded Reload
	buffer_load_dword v61, off, s[0:3], 0 offset:2408 ; 4-byte Folded Reload
	buffer_load_dword v62, off, s[0:3], 0 offset:2412 ; 4-byte Folded Reload
	buffer_load_dword v63, off, s[0:3], 0 offset:2416 ; 4-byte Folded Reload
	v_cndmask_b32_e64 v16, v16, v14, s[20:21]
	;; [unrolled: 36-line block ×3, first 2 shown]
	v_cndmask_b32_e64 v7, v111, v103, s[8:9]
	v_cndmask_b32_e64 v7, v7, v109, s[10:11]
	;; [unrolled: 1-line block ×11, first 2 shown]
	s_waitcnt vmcnt(15)
	v_mov_b32_e32 v18, v48
	v_cndmask_b32_e64 v16, v16, v18, s[22:23]
	v_cndmask_b32_e64 v12, v12, v18, s[42:43]
	v_mul_f64 v[70:71], v[16:17], v[88:89]
	v_fmac_f64_e32 v[70:71], v[12:13], v[74:75]
	v_cndmask_b32_e64 v86, v30, v70, s[40:41]
	v_cndmask_b32_e64 v87, v31, v71, s[40:41]
	buffer_load_dword v26, off, s[0:3], 0 offset:244 ; 4-byte Folded Reload
	buffer_load_dword v27, off, s[0:3], 0 offset:248 ; 4-byte Folded Reload
	;; [unrolled: 1-line block ×64, first 2 shown]
	v_cndmask_b32_e64 v99, v11, v71, s[50:51]
	v_cndmask_b32_e64 v127, v19, v71, s[44:45]
	;; [unrolled: 1-line block ×14, first 2 shown]
	v_cndmask_b32_e32 v84, v116, v70, vcc
	v_cndmask_b32_e32 v85, v117, v71, vcc
	s_waitcnt vmcnt(54)
	v_cndmask_b32_e64 v7, v7, v35, s[30:31]
	s_waitcnt vmcnt(20)
	v_mov_b32_e32 v11, v47
	buffer_load_dword v36, off, s[0:3], 0 offset:1524 ; 4-byte Folded Reload
	buffer_load_dword v37, off, s[0:3], 0 offset:1528 ; 4-byte Folded Reload
	;; [unrolled: 1-line block ×32, first 2 shown]
	v_cndmask_b32_e64 v7, v7, v11, s[34:35]
	v_cndmask_b32_e64 v21, v21, v34, s[14:15]
	;; [unrolled: 1-line block ×3, first 2 shown]
	s_waitcnt vmcnt(18)
	v_mov_b32_e32 v19, v49
	buffer_load_dword v36, off, s[0:3], 0 offset:1396 ; 4-byte Folded Reload
	buffer_load_dword v37, off, s[0:3], 0 offset:1400 ; 4-byte Folded Reload
	buffer_load_dword v38, off, s[0:3], 0 offset:1404 ; 4-byte Folded Reload
	buffer_load_dword v39, off, s[0:3], 0 offset:1408 ; 4-byte Folded Reload
	buffer_load_dword v40, off, s[0:3], 0 offset:1412 ; 4-byte Folded Reload
	buffer_load_dword v41, off, s[0:3], 0 offset:1416 ; 4-byte Folded Reload
	buffer_load_dword v42, off, s[0:3], 0 offset:1420 ; 4-byte Folded Reload
	buffer_load_dword v43, off, s[0:3], 0 offset:1424 ; 4-byte Folded Reload
	buffer_load_dword v44, off, s[0:3], 0 offset:1428 ; 4-byte Folded Reload
	buffer_load_dword v45, off, s[0:3], 0 offset:1432 ; 4-byte Folded Reload
	buffer_load_dword v46, off, s[0:3], 0 offset:1436 ; 4-byte Folded Reload
	buffer_load_dword v47, off, s[0:3], 0 offset:1440 ; 4-byte Folded Reload
	buffer_load_dword v48, off, s[0:3], 0 offset:1444 ; 4-byte Folded Reload
	buffer_load_dword v49, off, s[0:3], 0 offset:1448 ; 4-byte Folded Reload
	buffer_load_dword v50, off, s[0:3], 0 offset:1452 ; 4-byte Folded Reload
	buffer_load_dword v51, off, s[0:3], 0 offset:1456 ; 4-byte Folded Reload
	buffer_load_dword v52, off, s[0:3], 0 offset:1460 ; 4-byte Folded Reload
	buffer_load_dword v53, off, s[0:3], 0 offset:1464 ; 4-byte Folded Reload
	buffer_load_dword v54, off, s[0:3], 0 offset:1468 ; 4-byte Folded Reload
	buffer_load_dword v55, off, s[0:3], 0 offset:1472 ; 4-byte Folded Reload
	buffer_load_dword v56, off, s[0:3], 0 offset:1476 ; 4-byte Folded Reload
	buffer_load_dword v57, off, s[0:3], 0 offset:1480 ; 4-byte Folded Reload
	buffer_load_dword v58, off, s[0:3], 0 offset:1484 ; 4-byte Folded Reload
	buffer_load_dword v59, off, s[0:3], 0 offset:1488 ; 4-byte Folded Reload
	buffer_load_dword v60, off, s[0:3], 0 offset:1492 ; 4-byte Folded Reload
	buffer_load_dword v61, off, s[0:3], 0 offset:1496 ; 4-byte Folded Reload
	buffer_load_dword v62, off, s[0:3], 0 offset:1500 ; 4-byte Folded Reload
	buffer_load_dword v63, off, s[0:3], 0 offset:1504 ; 4-byte Folded Reload
	buffer_load_dword v64, off, s[0:3], 0 offset:1508 ; 4-byte Folded Reload
	buffer_load_dword v65, off, s[0:3], 0 offset:1512 ; 4-byte Folded Reload
	buffer_load_dword v66, off, s[0:3], 0 offset:1516 ; 4-byte Folded Reload
	buffer_load_dword v67, off, s[0:3], 0 offset:1520 ; 4-byte Folded Reload
	v_cndmask_b32_e64 v7, v7, v19, s[36:37]
	s_waitcnt vmcnt(16)
	v_mov_b32_e32 v15, v51
	buffer_load_dword v36, off, s[0:3], 0 offset:2164 ; 4-byte Folded Reload
	buffer_load_dword v37, off, s[0:3], 0 offset:2168 ; 4-byte Folded Reload
	buffer_load_dword v38, off, s[0:3], 0 offset:2172 ; 4-byte Folded Reload
	buffer_load_dword v39, off, s[0:3], 0 offset:2176 ; 4-byte Folded Reload
	buffer_load_dword v40, off, s[0:3], 0 offset:2180 ; 4-byte Folded Reload
	buffer_load_dword v41, off, s[0:3], 0 offset:2184 ; 4-byte Folded Reload
	buffer_load_dword v42, off, s[0:3], 0 offset:2188 ; 4-byte Folded Reload
	buffer_load_dword v43, off, s[0:3], 0 offset:2192 ; 4-byte Folded Reload
	buffer_load_dword v44, off, s[0:3], 0 offset:2196 ; 4-byte Folded Reload
	buffer_load_dword v45, off, s[0:3], 0 offset:2200 ; 4-byte Folded Reload
	buffer_load_dword v46, off, s[0:3], 0 offset:2204 ; 4-byte Folded Reload
	buffer_load_dword v47, off, s[0:3], 0 offset:2208 ; 4-byte Folded Reload
	buffer_load_dword v48, off, s[0:3], 0 offset:2212 ; 4-byte Folded Reload
	buffer_load_dword v49, off, s[0:3], 0 offset:2216 ; 4-byte Folded Reload
	buffer_load_dword v50, off, s[0:3], 0 offset:2220 ; 4-byte Folded Reload
	buffer_load_dword v51, off, s[0:3], 0 offset:2224 ; 4-byte Folded Reload
	buffer_load_dword v52, off, s[0:3], 0 offset:2228 ; 4-byte Folded Reload
	buffer_load_dword v53, off, s[0:3], 0 offset:2232 ; 4-byte Folded Reload
	buffer_load_dword v54, off, s[0:3], 0 offset:2236 ; 4-byte Folded Reload
	buffer_load_dword v55, off, s[0:3], 0 offset:2240 ; 4-byte Folded Reload
	buffer_load_dword v56, off, s[0:3], 0 offset:2244 ; 4-byte Folded Reload
	buffer_load_dword v57, off, s[0:3], 0 offset:2248 ; 4-byte Folded Reload
	buffer_load_dword v58, off, s[0:3], 0 offset:2252 ; 4-byte Folded Reload
	buffer_load_dword v59, off, s[0:3], 0 offset:2256 ; 4-byte Folded Reload
	buffer_load_dword v60, off, s[0:3], 0 offset:2260 ; 4-byte Folded Reload
	buffer_load_dword v61, off, s[0:3], 0 offset:2264 ; 4-byte Folded Reload
	buffer_load_dword v62, off, s[0:3], 0 offset:2268 ; 4-byte Folded Reload
	buffer_load_dword v63, off, s[0:3], 0 offset:2272 ; 4-byte Folded Reload
	buffer_load_dword v64, off, s[0:3], 0 offset:2276 ; 4-byte Folded Reload
	buffer_load_dword v65, off, s[0:3], 0 offset:2280 ; 4-byte Folded Reload
	buffer_load_dword v66, off, s[0:3], 0 offset:2284 ; 4-byte Folded Reload
	buffer_load_dword v67, off, s[0:3], 0 offset:2288 ; 4-byte Folded Reload
	v_cndmask_b32_e64 v7, v7, v15, s[38:39]
	;; [unrolled: 35-line block ×3, first 2 shown]
	v_cndmask_b32_e64 v12, v12, v10, s[34:35]
	s_waitcnt vmcnt(19)
	v_mov_b32_e32 v18, v48
	buffer_load_dword v36, off, s[0:3], 0 offset:1908 ; 4-byte Folded Reload
	buffer_load_dword v37, off, s[0:3], 0 offset:1912 ; 4-byte Folded Reload
	buffer_load_dword v38, off, s[0:3], 0 offset:1916 ; 4-byte Folded Reload
	buffer_load_dword v39, off, s[0:3], 0 offset:1920 ; 4-byte Folded Reload
	buffer_load_dword v40, off, s[0:3], 0 offset:1924 ; 4-byte Folded Reload
	buffer_load_dword v41, off, s[0:3], 0 offset:1928 ; 4-byte Folded Reload
	buffer_load_dword v42, off, s[0:3], 0 offset:1932 ; 4-byte Folded Reload
	buffer_load_dword v43, off, s[0:3], 0 offset:1936 ; 4-byte Folded Reload
	buffer_load_dword v44, off, s[0:3], 0 offset:1940 ; 4-byte Folded Reload
	buffer_load_dword v45, off, s[0:3], 0 offset:1944 ; 4-byte Folded Reload
	buffer_load_dword v46, off, s[0:3], 0 offset:1948 ; 4-byte Folded Reload
	buffer_load_dword v47, off, s[0:3], 0 offset:1952 ; 4-byte Folded Reload
	buffer_load_dword v48, off, s[0:3], 0 offset:1956 ; 4-byte Folded Reload
	buffer_load_dword v49, off, s[0:3], 0 offset:1960 ; 4-byte Folded Reload
	buffer_load_dword v50, off, s[0:3], 0 offset:1964 ; 4-byte Folded Reload
	buffer_load_dword v51, off, s[0:3], 0 offset:1968 ; 4-byte Folded Reload
	buffer_load_dword v52, off, s[0:3], 0 offset:1972 ; 4-byte Folded Reload
	buffer_load_dword v53, off, s[0:3], 0 offset:1976 ; 4-byte Folded Reload
	buffer_load_dword v54, off, s[0:3], 0 offset:1980 ; 4-byte Folded Reload
	buffer_load_dword v55, off, s[0:3], 0 offset:1984 ; 4-byte Folded Reload
	buffer_load_dword v56, off, s[0:3], 0 offset:1988 ; 4-byte Folded Reload
	buffer_load_dword v57, off, s[0:3], 0 offset:1992 ; 4-byte Folded Reload
	buffer_load_dword v58, off, s[0:3], 0 offset:1996 ; 4-byte Folded Reload
	buffer_load_dword v59, off, s[0:3], 0 offset:2000 ; 4-byte Folded Reload
	buffer_load_dword v60, off, s[0:3], 0 offset:2004 ; 4-byte Folded Reload
	buffer_load_dword v61, off, s[0:3], 0 offset:2008 ; 4-byte Folded Reload
	buffer_load_dword v62, off, s[0:3], 0 offset:2012 ; 4-byte Folded Reload
	buffer_load_dword v63, off, s[0:3], 0 offset:2016 ; 4-byte Folded Reload
	buffer_load_dword v64, off, s[0:3], 0 offset:2020 ; 4-byte Folded Reload
	buffer_load_dword v65, off, s[0:3], 0 offset:2024 ; 4-byte Folded Reload
	buffer_load_dword v66, off, s[0:3], 0 offset:2028 ; 4-byte Folded Reload
	buffer_load_dword v67, off, s[0:3], 0 offset:2032 ; 4-byte Folded Reload
	v_cndmask_b32_e64 v21, v21, v18, s[18:19]
	v_cndmask_b32_e64 v12, v12, v18, s[36:37]
	s_waitcnt vmcnt(17)
	v_mov_b32_e32 v14, v50
	buffer_load_dword v36, off, s[0:3], 0 offset:1268 ; 4-byte Folded Reload
	buffer_load_dword v37, off, s[0:3], 0 offset:1272 ; 4-byte Folded Reload
	buffer_load_dword v38, off, s[0:3], 0 offset:1276 ; 4-byte Folded Reload
	buffer_load_dword v39, off, s[0:3], 0 offset:1280 ; 4-byte Folded Reload
	buffer_load_dword v40, off, s[0:3], 0 offset:1284 ; 4-byte Folded Reload
	buffer_load_dword v41, off, s[0:3], 0 offset:1288 ; 4-byte Folded Reload
	buffer_load_dword v42, off, s[0:3], 0 offset:1292 ; 4-byte Folded Reload
	buffer_load_dword v43, off, s[0:3], 0 offset:1296 ; 4-byte Folded Reload
	buffer_load_dword v44, off, s[0:3], 0 offset:1300 ; 4-byte Folded Reload
	buffer_load_dword v45, off, s[0:3], 0 offset:1304 ; 4-byte Folded Reload
	buffer_load_dword v46, off, s[0:3], 0 offset:1308 ; 4-byte Folded Reload
	buffer_load_dword v47, off, s[0:3], 0 offset:1312 ; 4-byte Folded Reload
	buffer_load_dword v48, off, s[0:3], 0 offset:1316 ; 4-byte Folded Reload
	buffer_load_dword v49, off, s[0:3], 0 offset:1320 ; 4-byte Folded Reload
	buffer_load_dword v50, off, s[0:3], 0 offset:1324 ; 4-byte Folded Reload
	buffer_load_dword v51, off, s[0:3], 0 offset:1328 ; 4-byte Folded Reload
	buffer_load_dword v52, off, s[0:3], 0 offset:1332 ; 4-byte Folded Reload
	buffer_load_dword v53, off, s[0:3], 0 offset:1336 ; 4-byte Folded Reload
	buffer_load_dword v54, off, s[0:3], 0 offset:1340 ; 4-byte Folded Reload
	buffer_load_dword v55, off, s[0:3], 0 offset:1344 ; 4-byte Folded Reload
	buffer_load_dword v56, off, s[0:3], 0 offset:1348 ; 4-byte Folded Reload
	buffer_load_dword v57, off, s[0:3], 0 offset:1352 ; 4-byte Folded Reload
	buffer_load_dword v58, off, s[0:3], 0 offset:1356 ; 4-byte Folded Reload
	buffer_load_dword v59, off, s[0:3], 0 offset:1360 ; 4-byte Folded Reload
	buffer_load_dword v60, off, s[0:3], 0 offset:1364 ; 4-byte Folded Reload
	buffer_load_dword v61, off, s[0:3], 0 offset:1368 ; 4-byte Folded Reload
	buffer_load_dword v62, off, s[0:3], 0 offset:1372 ; 4-byte Folded Reload
	buffer_load_dword v63, off, s[0:3], 0 offset:1376 ; 4-byte Folded Reload
	buffer_load_dword v64, off, s[0:3], 0 offset:1380 ; 4-byte Folded Reload
	buffer_load_dword v65, off, s[0:3], 0 offset:1384 ; 4-byte Folded Reload
	buffer_load_dword v66, off, s[0:3], 0 offset:1388 ; 4-byte Folded Reload
	buffer_load_dword v67, off, s[0:3], 0 offset:1392 ; 4-byte Folded Reload
	v_cndmask_b32_e64 v21, v21, v14, s[20:21]
	;; [unrolled: 36-line block ×3, first 2 shown]
	v_cndmask_b32_e64 v7, v107, v105, s[8:9]
	v_cndmask_b32_e64 v7, v7, v69, s[10:11]
	;; [unrolled: 1-line block ×12, first 2 shown]
	s_waitcnt vmcnt(15)
	v_mov_b32_e32 v16, v52
	v_cndmask_b32_e64 v30, v21, v16, s[22:23]
	v_cndmask_b32_e64 v12, v12, v16, s[42:43]
	s_waitcnt vmcnt(0)
	v_mul_f64 v[66:67], v[30:31], v[88:89]
	v_fmac_f64_e32 v[66:67], v[12:13], v[74:75]
	v_cndmask_b32_e64 v142, v16, v66, s[44:45]
	v_cndmask_b32_e64 v141, v14, v66, s[46:47]
	;; [unrolled: 1-line block ×8, first 2 shown]
	v_cndmask_b32_e32 v114, v34, v66, vcc
	v_cndmask_b32_e32 v147, v35, v67, vcc
	buffer_load_dword v10, off, s[0:3], 0 offset:756 ; 4-byte Folded Reload
	buffer_load_dword v11, off, s[0:3], 0 offset:760 ; 4-byte Folded Reload
	;; [unrolled: 1-line block ×32, first 2 shown]
	v_cndmask_b32_e64 v115, v120, v66, s[40:41]
	v_cndmask_b32_e64 v120, v121, v67, s[40:41]
	s_waitcnt vmcnt(20)
	v_mov_b32_e32 v65, v21
	buffer_load_dword v10, off, s[0:3], 0 offset:628 ; 4-byte Folded Reload
	buffer_load_dword v11, off, s[0:3], 0 offset:632 ; 4-byte Folded Reload
	;; [unrolled: 1-line block ×32, first 2 shown]
	v_cndmask_b32_e64 v7, v7, v65, s[34:35]
	s_waitcnt vmcnt(18)
	v_mov_b32_e32 v79, v23
	buffer_load_dword v10, off, s[0:3], 0 offset:500 ; 4-byte Folded Reload
	buffer_load_dword v11, off, s[0:3], 0 offset:504 ; 4-byte Folded Reload
	buffer_load_dword v12, off, s[0:3], 0 offset:508 ; 4-byte Folded Reload
	buffer_load_dword v13, off, s[0:3], 0 offset:512 ; 4-byte Folded Reload
	buffer_load_dword v14, off, s[0:3], 0 offset:516 ; 4-byte Folded Reload
	buffer_load_dword v15, off, s[0:3], 0 offset:520 ; 4-byte Folded Reload
	buffer_load_dword v16, off, s[0:3], 0 offset:524 ; 4-byte Folded Reload
	buffer_load_dword v17, off, s[0:3], 0 offset:528 ; 4-byte Folded Reload
	buffer_load_dword v18, off, s[0:3], 0 offset:532 ; 4-byte Folded Reload
	buffer_load_dword v19, off, s[0:3], 0 offset:536 ; 4-byte Folded Reload
	buffer_load_dword v20, off, s[0:3], 0 offset:540 ; 4-byte Folded Reload
	buffer_load_dword v21, off, s[0:3], 0 offset:544 ; 4-byte Folded Reload
	buffer_load_dword v22, off, s[0:3], 0 offset:548 ; 4-byte Folded Reload
	buffer_load_dword v23, off, s[0:3], 0 offset:552 ; 4-byte Folded Reload
	buffer_load_dword v24, off, s[0:3], 0 offset:556 ; 4-byte Folded Reload
	buffer_load_dword v25, off, s[0:3], 0 offset:560 ; 4-byte Folded Reload
	buffer_load_dword v26, off, s[0:3], 0 offset:564 ; 4-byte Folded Reload
	buffer_load_dword v27, off, s[0:3], 0 offset:568 ; 4-byte Folded Reload
	buffer_load_dword v28, off, s[0:3], 0 offset:572 ; 4-byte Folded Reload
	buffer_load_dword v29, off, s[0:3], 0 offset:576 ; 4-byte Folded Reload
	buffer_load_dword v30, off, s[0:3], 0 offset:580 ; 4-byte Folded Reload
	buffer_load_dword v31, off, s[0:3], 0 offset:584 ; 4-byte Folded Reload
	buffer_load_dword v32, off, s[0:3], 0 offset:588 ; 4-byte Folded Reload
	buffer_load_dword v33, off, s[0:3], 0 offset:592 ; 4-byte Folded Reload
	buffer_load_dword v34, off, s[0:3], 0 offset:596 ; 4-byte Folded Reload
	buffer_load_dword v35, off, s[0:3], 0 offset:600 ; 4-byte Folded Reload
	buffer_load_dword v36, off, s[0:3], 0 offset:604 ; 4-byte Folded Reload
	buffer_load_dword v37, off, s[0:3], 0 offset:608 ; 4-byte Folded Reload
	buffer_load_dword v38, off, s[0:3], 0 offset:612 ; 4-byte Folded Reload
	buffer_load_dword v39, off, s[0:3], 0 offset:616 ; 4-byte Folded Reload
	buffer_load_dword v40, off, s[0:3], 0 offset:620 ; 4-byte Folded Reload
	buffer_load_dword v41, off, s[0:3], 0 offset:624 ; 4-byte Folded Reload
	s_waitcnt vmcnt(29)
	v_cndmask_b32_e64 v12, v152, v136, s[24:25]
	v_cndmask_b32_e64 v12, v12, v158, s[26:27]
	;; [unrolled: 1-line block ×6, first 2 shown]
	v_cmp_eq_u32_e64 s[24:25], 1, v124
	v_cmp_eq_u32_e64 s[26:27], 0, v124
	v_cndmask_b32_e64 v96, v105, v67, s[24:25]
	v_cmp_eq_u32_e64 s[30:31], 1, v129
	s_waitcnt vmcnt(16)
	v_mov_b32_e32 v83, v25
	buffer_load_dword v14, off, s[0:3], 0 offset:1140 ; 4-byte Folded Reload
	buffer_load_dword v15, off, s[0:3], 0 offset:1144 ; 4-byte Folded Reload
	;; [unrolled: 1-line block ×64, first 2 shown]
	v_cndmask_b32_e64 v7, v7, v83, s[38:39]
	s_waitcnt vmcnt(51)
	v_mov_b32_e32 v64, v26
	v_cndmask_b32_e64 v12, v12, v64, s[36:37]
	s_waitcnt vmcnt(17)
	v_cndmask_b32_e64 v42, v12, v46, s[38:39]
	buffer_load_dword v10, off, s[0:3], 0 offset:372 ; 4-byte Folded Reload
	buffer_load_dword v11, off, s[0:3], 0 offset:376 ; 4-byte Folded Reload
	;; [unrolled: 1-line block ×32, first 2 shown]
	v_cmp_eq_u32_e64 s[36:37], 2, v129
	v_cmp_eq_u32_e64 s[38:39], 3, v129
	s_waitcnt vmcnt(8)
	v_mov_b32_e32 v33, v27
	s_waitcnt vmcnt(6)
	v_cndmask_b32_e64 v35, v7, v33, s[42:43]
	buffer_load_dword v0, off, s[0:3], 0 offset:884 ; 4-byte Folded Reload
	buffer_load_dword v1, off, s[0:3], 0 offset:888 ; 4-byte Folded Reload
	;; [unrolled: 1-line block ×32, first 2 shown]
	s_waitcnt vmcnt(24)
	v_cndmask_b32_e64 v7, v153, v137, s[8:9]
	v_cndmask_b32_e64 v7, v7, v159, s[10:11]
	;; [unrolled: 1-line block ×3, first 2 shown]
	s_waitcnt vmcnt(10)
	v_cndmask_b32_e64 v21, v152, v136, s[8:9]
	v_cndmask_b32_e64 v7, v7, v123, s[14:15]
	;; [unrolled: 1-line block ×11, first 2 shown]
	v_mov_b32_e32 v7, 16
	v_cndmask_b32_e64 v21, v21, v46, s[20:21]
	v_lshl_add_u32 v10, v124, 2, v7
	v_mul_f64 v[8:9], v[76:77], v[88:89]
	v_fmac_f64_e32 v[8:9], v[72:73], v[74:75]
	v_cndmask_b32_e64 v56, v90, v8, s[46:47]
	v_cmp_eq_u32_e64 s[8:9], 2, v124
	v_cndmask_b32_e64 v57, v78, v8, s[44:45]
	v_cndmask_b32_e64 v55, v92, v8, s[48:49]
	;; [unrolled: 1-line block ×17, first 2 shown]
	v_cmp_eq_u32_e64 s[10:11], 2, v82
	v_cndmask_b32_e64 v72, v101, v9, s[40:41]
	v_cmp_eq_u32_e64 s[12:13], 3, v82
	v_cndmask_b32_e32 v73, v135, v9, vcc
	v_cmp_eq_u32_e64 s[14:15], 4, v82
	v_cndmask_b32_e64 v58, v97, v9, s[50:51]
	v_cmp_eq_u32_e64 s[16:17], 5, v82
	v_cmp_eq_u32_e64 s[18:19], 6, v82
	;; [unrolled: 1-line block ×3, first 2 shown]
	v_cndmask_b32_e64 v17, v160, v8, s[24:25]
	v_cndmask_b32_e64 v97, v107, v67, s[26:27]
	;; [unrolled: 1-line block ×3, first 2 shown]
	v_cndmask_b32_e32 v68, v134, v8, vcc
	v_cndmask_b32_e64 v44, v21, v16, s[22:23]
	buffer_load_dword v21, v10, s[0:3], 0 offen offset:40
	v_cndmask_b32_e64 v34, v42, v16, s[42:43]
	v_mul_f64 v[80:81], v[44:45], v[88:89]
	v_fmac_f64_e32 v[80:81], v[34:35], v[74:75]
	v_cndmask_b32_e64 v49, v79, v81, s[48:49]
	v_cndmask_b32_e64 v88, v108, v70, s[8:9]
	v_cndmask_b32_e64 v89, v102, v70, s[24:25]
	v_cndmask_b32_e64 v75, v158, v80, s[8:9]
	v_cndmask_b32_e64 v79, v159, v81, s[8:9]
	v_cndmask_b32_e64 v70, v161, v9, s[24:25]
	v_cmp_eq_u32_e64 s[8:9], 1, v82
	v_cndmask_b32_e64 v0, v69, v70, s[8:9]
	v_cndmask_b32_e64 v0, v0, v71, s[10:11]
	;; [unrolled: 1-line block ×9, first 2 shown]
	v_cmp_eq_u32_e64 s[22:23], 8, v82
	v_cndmask_b32_e64 v42, v118, v80, s[40:41]
	v_cndmask_b32_e64 v43, v119, v81, s[40:41]
	v_cmp_eq_u32_e64 s[40:41], 4, v129
	v_cmp_eq_u32_e64 s[42:43], 5, v129
	v_cndmask_b32_e64 v51, v33, v81, s[44:45]
	v_cmp_eq_u32_e64 s[44:45], 6, v129
	v_cndmask_b32_e64 v46, v46, v80, s[46:47]
	v_cndmask_b32_e64 v50, v83, v81, s[46:47]
	v_cmp_eq_u32_e64 s[46:47], 7, v129
	v_cndmask_b32_e64 v45, v64, v80, s[48:49]
	v_cmp_eq_u32_e64 s[48:49], 8, v129
	v_cndmask_b32_e64 v48, v65, v81, s[50:51]
	v_cndmask_b32_e32 v64, v122, v80, vcc
	v_cndmask_b32_e32 v65, v123, v81, vcc
	v_cndmask_b32_e64 v44, v112, v80, s[50:51]
	v_cndmask_b32_e64 v34, v136, v80, s[24:25]
	;; [unrolled: 1-line block ×5, first 2 shown]
	s_waitcnt vmcnt(0)
	v_lshl_add_u32 v7, v21, 2, v7
	buffer_load_dword v90, v7, s[0:3], 0 offen offset:40
	v_cndmask_b32_e64 v7, v0, v61, s[22:23]
	v_cndmask_b32_e64 v0, v16, v17, s[8:9]
	;; [unrolled: 1-line block ×25, first 2 shown]
	v_add_f64 v[8:9], -v[6:7], 0
	v_add_f64 v[12:13], v[10:11], -v[6:7]
	v_div_scale_f64 v[14:15], s[28:29], v[12:13], v[12:13], v[8:9]
	v_rcp_f64_e32 v[82:83], v[14:15]
	v_cmp_eq_u32_e64 s[24:25], 3, v21
	v_fma_f64 v[0:1], -v[14:15], v[82:83], 1.0
	v_fmac_f64_e32 v[82:83], v[82:83], v[0:1]
	v_fma_f64 v[0:1], -v[14:15], v[82:83], 1.0
	v_fmac_f64_e32 v[82:83], v[82:83], v[0:1]
	v_div_scale_f64 v[0:1], vcc, v[8:9], v[12:13], v[8:9]
	v_mul_f64 v[80:81], v[0:1], v[82:83]
	v_fma_f64 v[0:1], -v[14:15], v[80:81], v[0:1]
	s_waitcnt vmcnt(0)
	buffer_store_dword v90, off, s[0:3], 0 offset:100
	v_div_fmas_f64 v[0:1], v[0:1], v[82:83], v[80:81]
	v_div_fixup_f64 v[0:1], v[0:1], v[12:13], v[8:9]
	v_cndmask_b32_e64 v8, v94, v93, s[30:31]
	v_cndmask_b32_e64 v8, v8, v92, s[36:37]
	;; [unrolled: 1-line block ×32, first 2 shown]
	v_add_f64 v[12:13], -v[0:1], 1.0
	v_mul_f64 v[8:9], v[8:9], v[12:13]
	v_fmac_f64_e32 v[8:9], v[14:15], v[0:1]
	v_cmp_eq_u32_e32 vcc, 4, v21
	v_cndmask_b32_e64 v15, v87, v9, s[24:25]
	v_cndmask_b32_e64 v14, v86, v8, s[24:25]
	v_cndmask_b32_e32 v117, v85, v9, vcc
	v_cndmask_b32_e32 v116, v84, v8, vcc
	buffer_store_dword v8, off, s[0:3], 0 offset:116 ; 4-byte Folded Spill
	s_nop 0
	buffer_store_dword v9, off, s[0:3], 0 offset:120 ; 4-byte Folded Spill
	buffer_store_dword v10, off, s[0:3], 0 offset:124 ; 4-byte Folded Spill
	;; [unrolled: 1-line block ×31, first 2 shown]
	v_cndmask_b32_e64 v14, v97, v96, s[30:31]
	v_cndmask_b32_e64 v14, v14, v95, s[36:37]
	;; [unrolled: 1-line block ×47, first 2 shown]
	v_mul_f64 v[14:15], v[14:15], v[12:13]
	v_cndmask_b32_e64 v82, v82, v47, s[22:23]
	v_fmac_f64_e32 v[14:15], v[80:81], v[0:1]
	v_mul_f64 v[82:83], v[82:83], v[12:13]
	v_mul_f64 v[12:13], v[6:7], v[12:13]
	v_cmp_eq_u32_e64 s[26:27], 2, v21
	v_cmp_eq_u32_e64 s[28:29], 1, v21
	;; [unrolled: 1-line block ×3, first 2 shown]
	v_fmac_f64_e32 v[12:13], v[10:11], v[0:1]
	v_cndmask_b32_e32 v11, v147, v15, vcc
	v_cndmask_b32_e32 v10, v114, v14, vcc
	v_cndmask_b32_e64 v109, v92, v9, s[26:27]
	v_cndmask_b32_e64 v108, v88, v8, s[26:27]
	;; [unrolled: 1-line block ×6, first 2 shown]
	buffer_store_dword v2, off, s[0:3], 0 offset:244 ; 4-byte Folded Spill
	s_nop 0
	buffer_store_dword v3, off, s[0:3], 0 offset:248 ; 4-byte Folded Spill
	buffer_store_dword v4, off, s[0:3], 0 offset:252 ; 4-byte Folded Spill
	;; [unrolled: 1-line block ×31, first 2 shown]
	v_cndmask_b32_e64 v80, v98, v35, s[30:31]
	v_cndmask_b32_e64 v80, v80, v79, s[36:37]
	;; [unrolled: 1-line block ×16, first 2 shown]
	v_fmac_f64_e32 v[82:83], v[80:81], v[0:1]
	v_mov_b32_e32 v7, v124
	v_cndmask_b32_e32 v123, v65, v83, vcc
	v_cndmask_b32_e32 v122, v64, v82, vcc
	v_cndmask_b32_e64 v137, v35, v83, s[28:29]
	v_cndmask_b32_e64 v136, v34, v82, s[28:29]
	;; [unrolled: 1-line block ×8, first 2 shown]
	v_cmp_eq_u32_e64 s[12:13], 8, v21
	v_cndmask_b32_e64 v160, v17, v12, s[28:29]
	v_cndmask_b32_e64 v17, v127, v9, s[12:13]
	;; [unrolled: 1-line block ×10, first 2 shown]
	v_cndmask_b32_e32 v135, v73, v13, vcc
	v_cndmask_b32_e32 v134, v68, v12, vcc
	v_cndmask_b32_e64 v101, v72, v13, s[24:25]
	v_cndmask_b32_e64 v100, v67, v12, s[24:25]
	;; [unrolled: 1-line block ×7, first 2 shown]
	v_cmp_eq_u32_e32 vcc, 7, v21
	v_cmp_eq_u32_e64 s[8:9], 6, v21
	v_cmp_eq_u32_e64 s[10:11], 5, v21
	buffer_store_dword v0, off, s[0:3], 0 offset:2292 ; 4-byte Folded Spill
	s_nop 0
	buffer_store_dword v1, off, s[0:3], 0 offset:2296 ; 4-byte Folded Spill
	buffer_store_dword v2, off, s[0:3], 0 offset:2300 ; 4-byte Folded Spill
	;; [unrolled: 1-line block ×31, first 2 shown]
	v_pk_mov_b32 v[114:115], v[88:89], v[88:89] op_sel:[0,1]
	v_cndmask_b32_e64 v112, v44, v82, s[10:11]
	v_cndmask_b32_e64 v16, v131, v8, s[12:13]
	buffer_store_dword v0, off, s[0:3], 0 offset:2804 ; 4-byte Folded Spill
	s_nop 0
	buffer_store_dword v1, off, s[0:3], 0 offset:2808 ; 4-byte Folded Spill
	buffer_store_dword v2, off, s[0:3], 0 offset:2812 ; 4-byte Folded Spill
	;; [unrolled: 1-line block ×31, first 2 shown]
	v_cndmask_b32_e32 v17, v126, v9, vcc
	buffer_store_dword v2, off, s[0:3], 0 offset:2420 ; 4-byte Folded Spill
	s_nop 0
	buffer_store_dword v3, off, s[0:3], 0 offset:2424 ; 4-byte Folded Spill
	buffer_store_dword v4, off, s[0:3], 0 offset:2428 ; 4-byte Folded Spill
	;; [unrolled: 1-line block ×31, first 2 shown]
	v_cndmask_b32_e32 v16, v132, v8, vcc
	buffer_store_dword v2, off, s[0:3], 0 offset:2932 ; 4-byte Folded Spill
	s_nop 0
	buffer_store_dword v3, off, s[0:3], 0 offset:2936 ; 4-byte Folded Spill
	buffer_store_dword v4, off, s[0:3], 0 offset:2940 ; 4-byte Folded Spill
	buffer_store_dword v5, off, s[0:3], 0 offset:2944 ; 4-byte Folded Spill
	buffer_store_dword v6, off, s[0:3], 0 offset:2948 ; 4-byte Folded Spill
	buffer_store_dword v7, off, s[0:3], 0 offset:2952 ; 4-byte Folded Spill
	buffer_store_dword v8, off, s[0:3], 0 offset:2956 ; 4-byte Folded Spill
	buffer_store_dword v9, off, s[0:3], 0 offset:2960 ; 4-byte Folded Spill
	buffer_store_dword v10, off, s[0:3], 0 offset:2964 ; 4-byte Folded Spill
	buffer_store_dword v11, off, s[0:3], 0 offset:2968 ; 4-byte Folded Spill
	buffer_store_dword v12, off, s[0:3], 0 offset:2972 ; 4-byte Folded Spill
	buffer_store_dword v13, off, s[0:3], 0 offset:2976 ; 4-byte Folded Spill
	buffer_store_dword v14, off, s[0:3], 0 offset:2980 ; 4-byte Folded Spill
	buffer_store_dword v15, off, s[0:3], 0 offset:2984 ; 4-byte Folded Spill
	buffer_store_dword v16, off, s[0:3], 0 offset:2988 ; 4-byte Folded Spill
	buffer_store_dword v17, off, s[0:3], 0 offset:2992 ; 4-byte Folded Spill
	buffer_store_dword v18, off, s[0:3], 0 offset:2996 ; 4-byte Folded Spill
	buffer_store_dword v19, off, s[0:3], 0 offset:3000 ; 4-byte Folded Spill
	buffer_store_dword v20, off, s[0:3], 0 offset:3004 ; 4-byte Folded Spill
	buffer_store_dword v21, off, s[0:3], 0 offset:3008 ; 4-byte Folded Spill
	buffer_store_dword v22, off, s[0:3], 0 offset:3012 ; 4-byte Folded Spill
	buffer_store_dword v23, off, s[0:3], 0 offset:3016 ; 4-byte Folded Spill
	buffer_store_dword v24, off, s[0:3], 0 offset:3020 ; 4-byte Folded Spill
	buffer_store_dword v25, off, s[0:3], 0 offset:3024 ; 4-byte Folded Spill
	buffer_store_dword v26, off, s[0:3], 0 offset:3028 ; 4-byte Folded Spill
	buffer_store_dword v27, off, s[0:3], 0 offset:3032 ; 4-byte Folded Spill
	buffer_store_dword v28, off, s[0:3], 0 offset:3036 ; 4-byte Folded Spill
	buffer_store_dword v29, off, s[0:3], 0 offset:3040 ; 4-byte Folded Spill
	buffer_store_dword v30, off, s[0:3], 0 offset:3044 ; 4-byte Folded Spill
	buffer_store_dword v31, off, s[0:3], 0 offset:3048 ; 4-byte Folded Spill
	buffer_store_dword v32, off, s[0:3], 0 offset:3052 ; 4-byte Folded Spill
	buffer_store_dword v33, off, s[0:3], 0 offset:3056 ; 4-byte Folded Spill
	v_cndmask_b32_e64 v17, v125, v9, s[8:9]
	buffer_store_dword v4, off, s[0:3], 0 offset:2548 ; 4-byte Folded Spill
	s_nop 0
	buffer_store_dword v5, off, s[0:3], 0 offset:2552 ; 4-byte Folded Spill
	buffer_store_dword v6, off, s[0:3], 0 offset:2556 ; 4-byte Folded Spill
	buffer_store_dword v7, off, s[0:3], 0 offset:2560 ; 4-byte Folded Spill
	buffer_store_dword v8, off, s[0:3], 0 offset:2564 ; 4-byte Folded Spill
	buffer_store_dword v9, off, s[0:3], 0 offset:2568 ; 4-byte Folded Spill
	buffer_store_dword v10, off, s[0:3], 0 offset:2572 ; 4-byte Folded Spill
	buffer_store_dword v11, off, s[0:3], 0 offset:2576 ; 4-byte Folded Spill
	buffer_store_dword v12, off, s[0:3], 0 offset:2580 ; 4-byte Folded Spill
	buffer_store_dword v13, off, s[0:3], 0 offset:2584 ; 4-byte Folded Spill
	buffer_store_dword v14, off, s[0:3], 0 offset:2588 ; 4-byte Folded Spill
	buffer_store_dword v15, off, s[0:3], 0 offset:2592 ; 4-byte Folded Spill
	buffer_store_dword v16, off, s[0:3], 0 offset:2596 ; 4-byte Folded Spill
	buffer_store_dword v17, off, s[0:3], 0 offset:2600 ; 4-byte Folded Spill
	buffer_store_dword v18, off, s[0:3], 0 offset:2604 ; 4-byte Folded Spill
	buffer_store_dword v19, off, s[0:3], 0 offset:2608 ; 4-byte Folded Spill
	buffer_store_dword v20, off, s[0:3], 0 offset:2612 ; 4-byte Folded Spill
	buffer_store_dword v21, off, s[0:3], 0 offset:2616 ; 4-byte Folded Spill
	buffer_store_dword v22, off, s[0:3], 0 offset:2620 ; 4-byte Folded Spill
	buffer_store_dword v23, off, s[0:3], 0 offset:2624 ; 4-byte Folded Spill
	buffer_store_dword v24, off, s[0:3], 0 offset:2628 ; 4-byte Folded Spill
	buffer_store_dword v25, off, s[0:3], 0 offset:2632 ; 4-byte Folded Spill
	buffer_store_dword v26, off, s[0:3], 0 offset:2636 ; 4-byte Folded Spill
	buffer_store_dword v27, off, s[0:3], 0 offset:2640 ; 4-byte Folded Spill
	buffer_store_dword v28, off, s[0:3], 0 offset:2644 ; 4-byte Folded Spill
	buffer_store_dword v29, off, s[0:3], 0 offset:2648 ; 4-byte Folded Spill
	buffer_store_dword v30, off, s[0:3], 0 offset:2652 ; 4-byte Folded Spill
	buffer_store_dword v31, off, s[0:3], 0 offset:2656 ; 4-byte Folded Spill
	buffer_store_dword v32, off, s[0:3], 0 offset:2660 ; 4-byte Folded Spill
	buffer_store_dword v33, off, s[0:3], 0 offset:2664 ; 4-byte Folded Spill
	buffer_store_dword v34, off, s[0:3], 0 offset:2668 ; 4-byte Folded Spill
	buffer_store_dword v35, off, s[0:3], 0 offset:2672 ; 4-byte Folded Spill
	v_cndmask_b32_e64 v16, v133, v8, s[8:9]
	;; [unrolled: 34-line block ×6, first 2 shown]
	buffer_store_dword v0, off, s[0:3], 0 offset:1780 ; 4-byte Folded Spill
	s_nop 0
	buffer_store_dword v1, off, s[0:3], 0 offset:1784 ; 4-byte Folded Spill
	buffer_store_dword v2, off, s[0:3], 0 offset:1788 ; 4-byte Folded Spill
	;; [unrolled: 1-line block ×31, first 2 shown]
	v_cndmask_b32_e32 v17, v145, v15, vcc
	buffer_store_dword v2, off, s[0:3], 0 offset:1396 ; 4-byte Folded Spill
	s_nop 0
	buffer_store_dword v3, off, s[0:3], 0 offset:1400 ; 4-byte Folded Spill
	buffer_store_dword v4, off, s[0:3], 0 offset:1404 ; 4-byte Folded Spill
	;; [unrolled: 1-line block ×31, first 2 shown]
	v_cndmask_b32_e32 v16, v141, v14, vcc
	buffer_store_dword v2, off, s[0:3], 0 offset:1908 ; 4-byte Folded Spill
	s_nop 0
	buffer_store_dword v3, off, s[0:3], 0 offset:1912 ; 4-byte Folded Spill
	buffer_store_dword v4, off, s[0:3], 0 offset:1916 ; 4-byte Folded Spill
	buffer_store_dword v5, off, s[0:3], 0 offset:1920 ; 4-byte Folded Spill
	buffer_store_dword v6, off, s[0:3], 0 offset:1924 ; 4-byte Folded Spill
	buffer_store_dword v7, off, s[0:3], 0 offset:1928 ; 4-byte Folded Spill
	buffer_store_dword v8, off, s[0:3], 0 offset:1932 ; 4-byte Folded Spill
	buffer_store_dword v9, off, s[0:3], 0 offset:1936 ; 4-byte Folded Spill
	buffer_store_dword v10, off, s[0:3], 0 offset:1940 ; 4-byte Folded Spill
	buffer_store_dword v11, off, s[0:3], 0 offset:1944 ; 4-byte Folded Spill
	buffer_store_dword v12, off, s[0:3], 0 offset:1948 ; 4-byte Folded Spill
	buffer_store_dword v13, off, s[0:3], 0 offset:1952 ; 4-byte Folded Spill
	buffer_store_dword v14, off, s[0:3], 0 offset:1956 ; 4-byte Folded Spill
	buffer_store_dword v15, off, s[0:3], 0 offset:1960 ; 4-byte Folded Spill
	buffer_store_dword v16, off, s[0:3], 0 offset:1964 ; 4-byte Folded Spill
	buffer_store_dword v17, off, s[0:3], 0 offset:1968 ; 4-byte Folded Spill
	buffer_store_dword v18, off, s[0:3], 0 offset:1972 ; 4-byte Folded Spill
	buffer_store_dword v19, off, s[0:3], 0 offset:1976 ; 4-byte Folded Spill
	buffer_store_dword v20, off, s[0:3], 0 offset:1980 ; 4-byte Folded Spill
	buffer_store_dword v21, off, s[0:3], 0 offset:1984 ; 4-byte Folded Spill
	buffer_store_dword v22, off, s[0:3], 0 offset:1988 ; 4-byte Folded Spill
	buffer_store_dword v23, off, s[0:3], 0 offset:1992 ; 4-byte Folded Spill
	buffer_store_dword v24, off, s[0:3], 0 offset:1996 ; 4-byte Folded Spill
	buffer_store_dword v25, off, s[0:3], 0 offset:2000 ; 4-byte Folded Spill
	buffer_store_dword v26, off, s[0:3], 0 offset:2004 ; 4-byte Folded Spill
	buffer_store_dword v27, off, s[0:3], 0 offset:2008 ; 4-byte Folded Spill
	buffer_store_dword v28, off, s[0:3], 0 offset:2012 ; 4-byte Folded Spill
	buffer_store_dword v29, off, s[0:3], 0 offset:2016 ; 4-byte Folded Spill
	buffer_store_dword v30, off, s[0:3], 0 offset:2020 ; 4-byte Folded Spill
	buffer_store_dword v31, off, s[0:3], 0 offset:2024 ; 4-byte Folded Spill
	buffer_store_dword v32, off, s[0:3], 0 offset:2028 ; 4-byte Folded Spill
	buffer_store_dword v33, off, s[0:3], 0 offset:2032 ; 4-byte Folded Spill
	v_cndmask_b32_e64 v17, v144, v15, s[8:9]
	buffer_store_dword v4, off, s[0:3], 0 offset:1524 ; 4-byte Folded Spill
	s_nop 0
	buffer_store_dword v5, off, s[0:3], 0 offset:1528 ; 4-byte Folded Spill
	buffer_store_dword v6, off, s[0:3], 0 offset:1532 ; 4-byte Folded Spill
	buffer_store_dword v7, off, s[0:3], 0 offset:1536 ; 4-byte Folded Spill
	buffer_store_dword v8, off, s[0:3], 0 offset:1540 ; 4-byte Folded Spill
	buffer_store_dword v9, off, s[0:3], 0 offset:1544 ; 4-byte Folded Spill
	buffer_store_dword v10, off, s[0:3], 0 offset:1548 ; 4-byte Folded Spill
	buffer_store_dword v11, off, s[0:3], 0 offset:1552 ; 4-byte Folded Spill
	buffer_store_dword v12, off, s[0:3], 0 offset:1556 ; 4-byte Folded Spill
	buffer_store_dword v13, off, s[0:3], 0 offset:1560 ; 4-byte Folded Spill
	buffer_store_dword v14, off, s[0:3], 0 offset:1564 ; 4-byte Folded Spill
	buffer_store_dword v15, off, s[0:3], 0 offset:1568 ; 4-byte Folded Spill
	buffer_store_dword v16, off, s[0:3], 0 offset:1572 ; 4-byte Folded Spill
	buffer_store_dword v17, off, s[0:3], 0 offset:1576 ; 4-byte Folded Spill
	buffer_store_dword v18, off, s[0:3], 0 offset:1580 ; 4-byte Folded Spill
	buffer_store_dword v19, off, s[0:3], 0 offset:1584 ; 4-byte Folded Spill
	buffer_store_dword v20, off, s[0:3], 0 offset:1588 ; 4-byte Folded Spill
	buffer_store_dword v21, off, s[0:3], 0 offset:1592 ; 4-byte Folded Spill
	buffer_store_dword v22, off, s[0:3], 0 offset:1596 ; 4-byte Folded Spill
	buffer_store_dword v23, off, s[0:3], 0 offset:1600 ; 4-byte Folded Spill
	buffer_store_dword v24, off, s[0:3], 0 offset:1604 ; 4-byte Folded Spill
	buffer_store_dword v25, off, s[0:3], 0 offset:1608 ; 4-byte Folded Spill
	buffer_store_dword v26, off, s[0:3], 0 offset:1612 ; 4-byte Folded Spill
	buffer_store_dword v27, off, s[0:3], 0 offset:1616 ; 4-byte Folded Spill
	buffer_store_dword v28, off, s[0:3], 0 offset:1620 ; 4-byte Folded Spill
	buffer_store_dword v29, off, s[0:3], 0 offset:1624 ; 4-byte Folded Spill
	buffer_store_dword v30, off, s[0:3], 0 offset:1628 ; 4-byte Folded Spill
	buffer_store_dword v31, off, s[0:3], 0 offset:1632 ; 4-byte Folded Spill
	buffer_store_dword v32, off, s[0:3], 0 offset:1636 ; 4-byte Folded Spill
	buffer_store_dword v33, off, s[0:3], 0 offset:1640 ; 4-byte Folded Spill
	buffer_store_dword v34, off, s[0:3], 0 offset:1644 ; 4-byte Folded Spill
	buffer_store_dword v35, off, s[0:3], 0 offset:1648 ; 4-byte Folded Spill
	v_cndmask_b32_e64 v16, v140, v14, s[8:9]
	;; [unrolled: 34-line block ×6, first 2 shown]
	buffer_store_dword v0, off, s[0:3], 0 offset:884 ; 4-byte Folded Spill
	s_nop 0
	buffer_store_dword v1, off, s[0:3], 0 offset:888 ; 4-byte Folded Spill
	buffer_store_dword v2, off, s[0:3], 0 offset:892 ; 4-byte Folded Spill
	buffer_store_dword v3, off, s[0:3], 0 offset:896 ; 4-byte Folded Spill
	buffer_store_dword v4, off, s[0:3], 0 offset:900 ; 4-byte Folded Spill
	buffer_store_dword v5, off, s[0:3], 0 offset:904 ; 4-byte Folded Spill
	buffer_store_dword v6, off, s[0:3], 0 offset:908 ; 4-byte Folded Spill
	buffer_store_dword v7, off, s[0:3], 0 offset:912 ; 4-byte Folded Spill
	buffer_store_dword v8, off, s[0:3], 0 offset:916 ; 4-byte Folded Spill
	buffer_store_dword v9, off, s[0:3], 0 offset:920 ; 4-byte Folded Spill
	buffer_store_dword v10, off, s[0:3], 0 offset:924 ; 4-byte Folded Spill
	buffer_store_dword v11, off, s[0:3], 0 offset:928 ; 4-byte Folded Spill
	buffer_store_dword v12, off, s[0:3], 0 offset:932 ; 4-byte Folded Spill
	buffer_store_dword v13, off, s[0:3], 0 offset:936 ; 4-byte Folded Spill
	buffer_store_dword v14, off, s[0:3], 0 offset:940 ; 4-byte Folded Spill
	buffer_store_dword v15, off, s[0:3], 0 offset:944 ; 4-byte Folded Spill
	buffer_store_dword v16, off, s[0:3], 0 offset:948 ; 4-byte Folded Spill
	buffer_store_dword v17, off, s[0:3], 0 offset:952 ; 4-byte Folded Spill
	buffer_store_dword v18, off, s[0:3], 0 offset:956 ; 4-byte Folded Spill
	buffer_store_dword v19, off, s[0:3], 0 offset:960 ; 4-byte Folded Spill
	buffer_store_dword v20, off, s[0:3], 0 offset:964 ; 4-byte Folded Spill
	buffer_store_dword v21, off, s[0:3], 0 offset:968 ; 4-byte Folded Spill
	buffer_store_dword v22, off, s[0:3], 0 offset:972 ; 4-byte Folded Spill
	buffer_store_dword v23, off, s[0:3], 0 offset:976 ; 4-byte Folded Spill
	buffer_store_dword v24, off, s[0:3], 0 offset:980 ; 4-byte Folded Spill
	buffer_store_dword v25, off, s[0:3], 0 offset:984 ; 4-byte Folded Spill
	buffer_store_dword v26, off, s[0:3], 0 offset:988 ; 4-byte Folded Spill
	buffer_store_dword v27, off, s[0:3], 0 offset:992 ; 4-byte Folded Spill
	buffer_store_dword v28, off, s[0:3], 0 offset:996 ; 4-byte Folded Spill
	buffer_store_dword v29, off, s[0:3], 0 offset:1000 ; 4-byte Folded Spill
	buffer_store_dword v30, off, s[0:3], 0 offset:1004 ; 4-byte Folded Spill
	buffer_store_dword v31, off, s[0:3], 0 offset:1008 ; 4-byte Folded Spill
	v_cndmask_b32_e32 v15, v50, v83, vcc
	buffer_store_dword v0, off, s[0:3], 0 offset:500 ; 4-byte Folded Spill
	s_nop 0
	buffer_store_dword v1, off, s[0:3], 0 offset:504 ; 4-byte Folded Spill
	buffer_store_dword v2, off, s[0:3], 0 offset:508 ; 4-byte Folded Spill
	buffer_store_dword v3, off, s[0:3], 0 offset:512 ; 4-byte Folded Spill
	buffer_store_dword v4, off, s[0:3], 0 offset:516 ; 4-byte Folded Spill
	buffer_store_dword v5, off, s[0:3], 0 offset:520 ; 4-byte Folded Spill
	buffer_store_dword v6, off, s[0:3], 0 offset:524 ; 4-byte Folded Spill
	buffer_store_dword v7, off, s[0:3], 0 offset:528 ; 4-byte Folded Spill
	buffer_store_dword v8, off, s[0:3], 0 offset:532 ; 4-byte Folded Spill
	buffer_store_dword v9, off, s[0:3], 0 offset:536 ; 4-byte Folded Spill
	buffer_store_dword v10, off, s[0:3], 0 offset:540 ; 4-byte Folded Spill
	buffer_store_dword v11, off, s[0:3], 0 offset:544 ; 4-byte Folded Spill
	buffer_store_dword v12, off, s[0:3], 0 offset:548 ; 4-byte Folded Spill
	buffer_store_dword v13, off, s[0:3], 0 offset:552 ; 4-byte Folded Spill
	buffer_store_dword v14, off, s[0:3], 0 offset:556 ; 4-byte Folded Spill
	buffer_store_dword v15, off, s[0:3], 0 offset:560 ; 4-byte Folded Spill
	buffer_store_dword v16, off, s[0:3], 0 offset:564 ; 4-byte Folded Spill
	buffer_store_dword v17, off, s[0:3], 0 offset:568 ; 4-byte Folded Spill
	buffer_store_dword v18, off, s[0:3], 0 offset:572 ; 4-byte Folded Spill
	buffer_store_dword v19, off, s[0:3], 0 offset:576 ; 4-byte Folded Spill
	buffer_store_dword v20, off, s[0:3], 0 offset:580 ; 4-byte Folded Spill
	buffer_store_dword v21, off, s[0:3], 0 offset:584 ; 4-byte Folded Spill
	buffer_store_dword v22, off, s[0:3], 0 offset:588 ; 4-byte Folded Spill
	buffer_store_dword v23, off, s[0:3], 0 offset:592 ; 4-byte Folded Spill
	buffer_store_dword v24, off, s[0:3], 0 offset:596 ; 4-byte Folded Spill
	buffer_store_dword v25, off, s[0:3], 0 offset:600 ; 4-byte Folded Spill
	buffer_store_dword v26, off, s[0:3], 0 offset:604 ; 4-byte Folded Spill
	buffer_store_dword v27, off, s[0:3], 0 offset:608 ; 4-byte Folded Spill
	buffer_store_dword v28, off, s[0:3], 0 offset:612 ; 4-byte Folded Spill
	buffer_store_dword v29, off, s[0:3], 0 offset:616 ; 4-byte Folded Spill
	buffer_store_dword v30, off, s[0:3], 0 offset:620 ; 4-byte Folded Spill
	buffer_store_dword v31, off, s[0:3], 0 offset:624 ; 4-byte Folded Spill
	v_cndmask_b32_e32 v14, v46, v82, vcc
	buffer_store_dword v0, off, s[0:3], 0 offset:1012 ; 4-byte Folded Spill
	s_nop 0
	buffer_store_dword v1, off, s[0:3], 0 offset:1016 ; 4-byte Folded Spill
	buffer_store_dword v2, off, s[0:3], 0 offset:1020 ; 4-byte Folded Spill
	buffer_store_dword v3, off, s[0:3], 0 offset:1024 ; 4-byte Folded Spill
	buffer_store_dword v4, off, s[0:3], 0 offset:1028 ; 4-byte Folded Spill
	buffer_store_dword v5, off, s[0:3], 0 offset:1032 ; 4-byte Folded Spill
	buffer_store_dword v6, off, s[0:3], 0 offset:1036 ; 4-byte Folded Spill
	buffer_store_dword v7, off, s[0:3], 0 offset:1040 ; 4-byte Folded Spill
	buffer_store_dword v8, off, s[0:3], 0 offset:1044 ; 4-byte Folded Spill
	buffer_store_dword v9, off, s[0:3], 0 offset:1048 ; 4-byte Folded Spill
	buffer_store_dword v10, off, s[0:3], 0 offset:1052 ; 4-byte Folded Spill
	buffer_store_dword v11, off, s[0:3], 0 offset:1056 ; 4-byte Folded Spill
	buffer_store_dword v12, off, s[0:3], 0 offset:1060 ; 4-byte Folded Spill
	buffer_store_dword v13, off, s[0:3], 0 offset:1064 ; 4-byte Folded Spill
	buffer_store_dword v14, off, s[0:3], 0 offset:1068 ; 4-byte Folded Spill
	buffer_store_dword v15, off, s[0:3], 0 offset:1072 ; 4-byte Folded Spill
	buffer_store_dword v16, off, s[0:3], 0 offset:1076 ; 4-byte Folded Spill
	buffer_store_dword v17, off, s[0:3], 0 offset:1080 ; 4-byte Folded Spill
	buffer_store_dword v18, off, s[0:3], 0 offset:1084 ; 4-byte Folded Spill
	buffer_store_dword v19, off, s[0:3], 0 offset:1088 ; 4-byte Folded Spill
	buffer_store_dword v20, off, s[0:3], 0 offset:1092 ; 4-byte Folded Spill
	buffer_store_dword v21, off, s[0:3], 0 offset:1096 ; 4-byte Folded Spill
	buffer_store_dword v22, off, s[0:3], 0 offset:1100 ; 4-byte Folded Spill
	buffer_store_dword v23, off, s[0:3], 0 offset:1104 ; 4-byte Folded Spill
	buffer_store_dword v24, off, s[0:3], 0 offset:1108 ; 4-byte Folded Spill
	buffer_store_dword v25, off, s[0:3], 0 offset:1112 ; 4-byte Folded Spill
	buffer_store_dword v26, off, s[0:3], 0 offset:1116 ; 4-byte Folded Spill
	buffer_store_dword v27, off, s[0:3], 0 offset:1120 ; 4-byte Folded Spill
	buffer_store_dword v28, off, s[0:3], 0 offset:1124 ; 4-byte Folded Spill
	buffer_store_dword v29, off, s[0:3], 0 offset:1128 ; 4-byte Folded Spill
	buffer_store_dword v30, off, s[0:3], 0 offset:1132 ; 4-byte Folded Spill
	buffer_store_dword v31, off, s[0:3], 0 offset:1136 ; 4-byte Folded Spill
	v_cndmask_b32_e64 v15, v49, v83, s[8:9]
	buffer_store_dword v2, off, s[0:3], 0 offset:628 ; 4-byte Folded Spill
	s_nop 0
	buffer_store_dword v3, off, s[0:3], 0 offset:632 ; 4-byte Folded Spill
	buffer_store_dword v4, off, s[0:3], 0 offset:636 ; 4-byte Folded Spill
	buffer_store_dword v5, off, s[0:3], 0 offset:640 ; 4-byte Folded Spill
	buffer_store_dword v6, off, s[0:3], 0 offset:644 ; 4-byte Folded Spill
	buffer_store_dword v7, off, s[0:3], 0 offset:648 ; 4-byte Folded Spill
	buffer_store_dword v8, off, s[0:3], 0 offset:652 ; 4-byte Folded Spill
	buffer_store_dword v9, off, s[0:3], 0 offset:656 ; 4-byte Folded Spill
	buffer_store_dword v10, off, s[0:3], 0 offset:660 ; 4-byte Folded Spill
	buffer_store_dword v11, off, s[0:3], 0 offset:664 ; 4-byte Folded Spill
	buffer_store_dword v12, off, s[0:3], 0 offset:668 ; 4-byte Folded Spill
	buffer_store_dword v13, off, s[0:3], 0 offset:672 ; 4-byte Folded Spill
	buffer_store_dword v14, off, s[0:3], 0 offset:676 ; 4-byte Folded Spill
	buffer_store_dword v15, off, s[0:3], 0 offset:680 ; 4-byte Folded Spill
	buffer_store_dword v16, off, s[0:3], 0 offset:684 ; 4-byte Folded Spill
	buffer_store_dword v17, off, s[0:3], 0 offset:688 ; 4-byte Folded Spill
	buffer_store_dword v18, off, s[0:3], 0 offset:692 ; 4-byte Folded Spill
	buffer_store_dword v19, off, s[0:3], 0 offset:696 ; 4-byte Folded Spill
	buffer_store_dword v20, off, s[0:3], 0 offset:700 ; 4-byte Folded Spill
	buffer_store_dword v21, off, s[0:3], 0 offset:704 ; 4-byte Folded Spill
	buffer_store_dword v22, off, s[0:3], 0 offset:708 ; 4-byte Folded Spill
	buffer_store_dword v23, off, s[0:3], 0 offset:712 ; 4-byte Folded Spill
	buffer_store_dword v24, off, s[0:3], 0 offset:716 ; 4-byte Folded Spill
	buffer_store_dword v25, off, s[0:3], 0 offset:720 ; 4-byte Folded Spill
	buffer_store_dword v26, off, s[0:3], 0 offset:724 ; 4-byte Folded Spill
	buffer_store_dword v27, off, s[0:3], 0 offset:728 ; 4-byte Folded Spill
	buffer_store_dword v28, off, s[0:3], 0 offset:732 ; 4-byte Folded Spill
	buffer_store_dword v29, off, s[0:3], 0 offset:736 ; 4-byte Folded Spill
	buffer_store_dword v30, off, s[0:3], 0 offset:740 ; 4-byte Folded Spill
	buffer_store_dword v31, off, s[0:3], 0 offset:744 ; 4-byte Folded Spill
	buffer_store_dword v32, off, s[0:3], 0 offset:748 ; 4-byte Folded Spill
	buffer_store_dword v33, off, s[0:3], 0 offset:752 ; 4-byte Folded Spill
	v_cndmask_b32_e64 v14, v45, v82, s[8:9]
	;; [unrolled: 34-line block ×4, first 2 shown]
	v_cndmask_b32_e64 v16, v57, v12, s[12:13]
	s_mov_b32 s12, 0x43d00
	buffer_store_dword v0, off, s[0:3], s12 ; 4-byte Folded Spill
	s_nop 0
	buffer_store_dword v1, off, s[0:3], s12 offset:4 ; 4-byte Folded Spill
	buffer_store_dword v2, off, s[0:3], s12 offset:8 ; 4-byte Folded Spill
	;; [unrolled: 1-line block ×31, first 2 shown]
	v_cndmask_b32_e32 v15, v60, v13, vcc
	buffer_store_dword v0, off, s[0:3], 0 offset:3572 ; 4-byte Folded Spill
	s_nop 0
	buffer_store_dword v1, off, s[0:3], 0 offset:3576 ; 4-byte Folded Spill
	buffer_store_dword v2, off, s[0:3], 0 offset:3580 ; 4-byte Folded Spill
	;; [unrolled: 1-line block ×31, first 2 shown]
	v_cndmask_b32_e32 v14, v56, v12, vcc
	buffer_store_dword v0, off, s[0:3], 0 offset:3956 ; 4-byte Folded Spill
	s_nop 0
	buffer_store_dword v1, off, s[0:3], 0 offset:3960 ; 4-byte Folded Spill
	buffer_store_dword v2, off, s[0:3], 0 offset:3964 ; 4-byte Folded Spill
	;; [unrolled: 1-line block ×31, first 2 shown]
	v_cndmask_b32_e64 v15, v59, v13, s[8:9]
	buffer_store_dword v2, off, s[0:3], 0 offset:3700 ; 4-byte Folded Spill
	s_nop 0
	buffer_store_dword v3, off, s[0:3], 0 offset:3704 ; 4-byte Folded Spill
	buffer_store_dword v4, off, s[0:3], 0 offset:3708 ; 4-byte Folded Spill
	buffer_store_dword v5, off, s[0:3], 0 offset:3712 ; 4-byte Folded Spill
	buffer_store_dword v6, off, s[0:3], 0 offset:3716 ; 4-byte Folded Spill
	buffer_store_dword v7, off, s[0:3], 0 offset:3720 ; 4-byte Folded Spill
	buffer_store_dword v8, off, s[0:3], 0 offset:3724 ; 4-byte Folded Spill
	buffer_store_dword v9, off, s[0:3], 0 offset:3728 ; 4-byte Folded Spill
	buffer_store_dword v10, off, s[0:3], 0 offset:3732 ; 4-byte Folded Spill
	buffer_store_dword v11, off, s[0:3], 0 offset:3736 ; 4-byte Folded Spill
	buffer_store_dword v12, off, s[0:3], 0 offset:3740 ; 4-byte Folded Spill
	buffer_store_dword v13, off, s[0:3], 0 offset:3744 ; 4-byte Folded Spill
	buffer_store_dword v14, off, s[0:3], 0 offset:3748 ; 4-byte Folded Spill
	buffer_store_dword v15, off, s[0:3], 0 offset:3752 ; 4-byte Folded Spill
	buffer_store_dword v16, off, s[0:3], 0 offset:3756 ; 4-byte Folded Spill
	buffer_store_dword v17, off, s[0:3], 0 offset:3760 ; 4-byte Folded Spill
	buffer_store_dword v18, off, s[0:3], 0 offset:3764 ; 4-byte Folded Spill
	buffer_store_dword v19, off, s[0:3], 0 offset:3768 ; 4-byte Folded Spill
	buffer_store_dword v20, off, s[0:3], 0 offset:3772 ; 4-byte Folded Spill
	buffer_store_dword v21, off, s[0:3], 0 offset:3776 ; 4-byte Folded Spill
	buffer_store_dword v22, off, s[0:3], 0 offset:3780 ; 4-byte Folded Spill
	buffer_store_dword v23, off, s[0:3], 0 offset:3784 ; 4-byte Folded Spill
	buffer_store_dword v24, off, s[0:3], 0 offset:3788 ; 4-byte Folded Spill
	buffer_store_dword v25, off, s[0:3], 0 offset:3792 ; 4-byte Folded Spill
	buffer_store_dword v26, off, s[0:3], 0 offset:3796 ; 4-byte Folded Spill
	buffer_store_dword v27, off, s[0:3], 0 offset:3800 ; 4-byte Folded Spill
	buffer_store_dword v28, off, s[0:3], 0 offset:3804 ; 4-byte Folded Spill
	buffer_store_dword v29, off, s[0:3], 0 offset:3808 ; 4-byte Folded Spill
	buffer_store_dword v30, off, s[0:3], 0 offset:3812 ; 4-byte Folded Spill
	buffer_store_dword v31, off, s[0:3], 0 offset:3816 ; 4-byte Folded Spill
	buffer_store_dword v32, off, s[0:3], 0 offset:3820 ; 4-byte Folded Spill
	buffer_store_dword v33, off, s[0:3], 0 offset:3824 ; 4-byte Folded Spill
	v_cndmask_b32_e64 v14, v55, v12, s[8:9]
	s_mov_b32 s8, 0x3fd00
	buffer_store_dword v2, off, s[0:3], s8  ; 4-byte Folded Spill
	s_nop 0
	buffer_store_dword v3, off, s[0:3], s8 offset:4 ; 4-byte Folded Spill
	buffer_store_dword v4, off, s[0:3], s8 offset:8 ; 4-byte Folded Spill
	;; [unrolled: 1-line block ×31, first 2 shown]
	s_mov_b32 s8, 0x41d00
	v_cndmask_b32_e64 v11, v58, v13, s[10:11]
	buffer_store_dword v0, off, s[0:3], 0 offset:3828 ; 4-byte Folded Spill
	s_nop 0
	buffer_store_dword v1, off, s[0:3], 0 offset:3832 ; 4-byte Folded Spill
	buffer_store_dword v2, off, s[0:3], 0 offset:3836 ; 4-byte Folded Spill
	;; [unrolled: 1-line block ×31, first 2 shown]
	buffer_load_dword v13, off, s[0:3], 0 offset:112 ; 4-byte Folded Reload
	v_cndmask_b32_e64 v10, v54, v12, s[10:11]
	s_waitcnt vmcnt(0)
	buffer_store_dword v0, off, s[0:3], s8  ; 4-byte Folded Spill
	s_nop 0
	buffer_store_dword v1, off, s[0:3], s8 offset:4 ; 4-byte Folded Spill
	buffer_store_dword v2, off, s[0:3], s8 offset:8 ; 4-byte Folded Spill
	;; [unrolled: 1-line block ×31, first 2 shown]
.LBB0_73:
	s_or_b64 exec, exec, s[58:59]
	s_mov_b64 s[8:9], 0
	buffer_store_dword v130, off, s[0:3], 0 offset:96
	s_mov_b64 s[22:23], exec
	buffer_load_dword v32, off, s[0:3], 0 offset:3572 ; 4-byte Folded Reload
	buffer_load_dword v33, off, s[0:3], 0 offset:3576 ; 4-byte Folded Reload
	;; [unrolled: 1-line block ×32, first 2 shown]
	s_mov_b32 s12, 0x43d00
	s_and_b64 s[10:11], s[22:23], s[4:5]
	v_pk_mov_b32 v[22:23], v[114:115], v[114:115] op_sel:[0,1]
	v_pk_mov_b32 v[24:25], v[104:105], v[104:105] op_sel:[0,1]
	;; [unrolled: 1-line block ×3, first 2 shown]
	s_waitcnt vmcnt(16)
	v_mov_b32_e32 v33, v47
	buffer_load_dword v34, off, s[0:3], 0 offset:3700 ; 4-byte Folded Reload
	buffer_load_dword v35, off, s[0:3], 0 offset:3704 ; 4-byte Folded Reload
	;; [unrolled: 1-line block ×32, first 2 shown]
	s_waitcnt vmcnt(18)
	v_mov_b32_e32 v15, v47
	buffer_load_dword v34, off, s[0:3], 0 offset:3828 ; 4-byte Folded Reload
	buffer_load_dword v35, off, s[0:3], 0 offset:3832 ; 4-byte Folded Reload
	;; [unrolled: 1-line block ×32, first 2 shown]
	s_waitcnt vmcnt(20)
	v_mov_b32_e32 v17, v45
	buffer_load_dword v34, off, s[0:3], s12 ; 4-byte Folded Reload
	buffer_load_dword v35, off, s[0:3], s12 offset:4 ; 4-byte Folded Reload
	buffer_load_dword v36, off, s[0:3], s12 offset:8 ; 4-byte Folded Reload
	;; [unrolled: 1-line block ×31, first 2 shown]
	s_mov_b32 s12, 0x3fd00
	s_waitcnt vmcnt(15)
	v_mov_b32_e32 v16, v50
	buffer_load_dword v34, off, s[0:3], 0 offset:3956 ; 4-byte Folded Reload
	buffer_load_dword v35, off, s[0:3], 0 offset:3960 ; 4-byte Folded Reload
	;; [unrolled: 1-line block ×32, first 2 shown]
	s_waitcnt vmcnt(17)
	v_mov_b32_e32 v18, v48
	buffer_load_dword v34, off, s[0:3], s12 ; 4-byte Folded Reload
	buffer_load_dword v35, off, s[0:3], s12 offset:4 ; 4-byte Folded Reload
	buffer_load_dword v36, off, s[0:3], s12 offset:8 ; 4-byte Folded Reload
	;; [unrolled: 1-line block ×31, first 2 shown]
	s_mov_b32 s12, 0x41d00
	s_waitcnt vmcnt(19)
	v_mov_b32_e32 v20, v46
	buffer_load_dword v34, off, s[0:3], s12 ; 4-byte Folded Reload
	buffer_load_dword v35, off, s[0:3], s12 offset:4 ; 4-byte Folded Reload
	buffer_load_dword v36, off, s[0:3], s12 offset:8 ; 4-byte Folded Reload
	;; [unrolled: 1-line block ×31, first 2 shown]
	s_waitcnt vmcnt(21)
	v_mov_b32_e32 v28, v44
	s_mov_b64 exec, s[10:11]
	s_cbranch_execz .LBB0_83
; %bb.74:
	s_mov_b64 s[24:25], 0
	v_cmp_gt_f64_e32 vcc, 0, v[150:151]
	v_mov_b32_e32 v4, v113
	s_branch .LBB0_76
.LBB0_75:                               ;   in Loop: Header=BB0_76 Depth=1
	s_or_b64 exec, exec, s[8:9]
	s_waitcnt vmcnt(0)
	v_cmp_gt_i32_e64 s[8:9], 0, v5
	s_or_b64 s[24:25], s[8:9], s[24:25]
	v_mov_b32_e32 v4, v5
	s_andn2_b64 exec, exec, s[24:25]
	s_cbranch_execz .LBB0_82
.LBB0_76:                               ; =>This Inner Loop Header: Depth=1
	v_cmp_eq_u32_e64 s[8:9], 1, v4
	v_cndmask_b32_e64 v5, v163, v161, s[8:9]
	v_cmp_eq_u32_e64 s[10:11], 2, v4
	v_cndmask_b32_e64 v6, v162, v160, s[8:9]
	v_cndmask_b32_e64 v5, v5, v165, s[10:11]
	v_cmp_eq_u32_e64 s[12:13], 3, v4
	v_cndmask_b32_e64 v6, v6, v164, s[10:11]
	;; [unrolled: 3-line block ×6, first 2 shown]
	v_cndmask_b32_e64 v5, v5, v33, s[20:21]
	v_cndmask_b32_e64 v6, v6, v18, s[20:21]
	v_cmp_eq_u32_e64 s[8:9], 8, v4
	v_cndmask_b32_e64 v9, v5, v31, s[8:9]
	v_cndmask_b32_e64 v8, v6, v16, s[8:9]
	v_cmp_ngt_f64_e64 s[8:9], 0, v[8:9]
	v_lshl_add_u32 v8, v4, 2, v13
	buffer_load_dword v5, v8, s[0:3], 0 offen
	s_mov_b64 s[10:11], 0
                                        ; implicit-def: $vgpr6
	s_and_saveexec_b64 s[12:13], s[8:9]
	s_xor_b64 s[12:13], exec, s[12:13]
	s_cbranch_execnz .LBB0_79
; %bb.77:                               ;   in Loop: Header=BB0_76 Depth=1
	s_andn2_saveexec_b64 s[8:9], s[12:13]
	s_cbranch_execnz .LBB0_80
.LBB0_78:                               ;   in Loop: Header=BB0_76 Depth=1
	s_or_b64 exec, exec, s[8:9]
	s_and_saveexec_b64 s[8:9], s[10:11]
	s_cbranch_execz .LBB0_75
	s_branch .LBB0_81
.LBB0_79:                               ;   in Loop: Header=BB0_76 Depth=1
	buffer_load_dword v6, off, s[0:3], 0 offset:96
                                        ; implicit-def: $vgpr8
	s_waitcnt vmcnt(0)
	v_cmp_eq_u32_e64 s[8:9], -1, v6
	v_mov_b32_e32 v6, 0x60
	s_and_b64 s[10:11], s[8:9], exec
	s_andn2_saveexec_b64 s[8:9], s[12:13]
	s_cbranch_execz .LBB0_78
.LBB0_80:                               ;   in Loop: Header=BB0_76 Depth=1
	buffer_load_dword v9, off, s[0:3], 0 offset:100
	v_mov_b32_e32 v6, 0x64
	s_or_b64 s[10:11], s[10:11], exec
	s_waitcnt vmcnt(0)
	buffer_store_dword v9, v8, s[0:3], 0 offen
	s_or_b64 exec, exec, s[8:9]
	s_and_saveexec_b64 s[8:9], s[10:11]
	s_cbranch_execz .LBB0_75
.LBB0_81:                               ;   in Loop: Header=BB0_76 Depth=1
	buffer_store_dword v4, v6, s[0:3], 0 offen
	s_branch .LBB0_75
.LBB0_82:
	s_or_b64 exec, exec, s[24:25]
	s_and_b64 s[8:9], vcc, exec
.LBB0_83:
	s_or_b64 exec, exec, s[22:23]
	s_and_saveexec_b64 s[10:11], s[6:7]
	s_cbranch_execz .LBB0_85
; %bb.84:
	v_mov_b32_e32 v4, 16
	v_cmp_gt_f64_e32 vcc, 0, v[148:149]
	v_lshl_add_u32 v5, v128, 2, v4
	s_or_b64 s[6:7], vcc, s[8:9]
	v_lshl_add_u32 v6, v7, 2, v4
	v_cndmask_b32_e64 v2, v129, -1, s[6:7]
	v_lshl_add_u32 v3, v21, 2, v4
	buffer_store_dword v7, v5, s[0:3], 0 offen offset:40
	buffer_store_dword v21, v6, s[0:3], 0 offen offset:40
	;; [unrolled: 1-line block ×3, first 2 shown]
.LBB0_85:
	s_or_b64 exec, exec, s[10:11]
	buffer_load_dword v14, off, s[0:3], 0 offset:96
	v_pk_mov_b32 v[138:139], 0, 0
	v_pk_mov_b32 v[142:143], v[138:139], v[138:139] op_sel:[0,1]
	v_pk_mov_b32 v[154:155], v[138:139], v[138:139] op_sel:[0,1]
	;; [unrolled: 1-line block ×4, first 2 shown]
	s_waitcnt vmcnt(0)
	v_cmp_lt_i32_e32 vcc, -1, v14
	s_and_saveexec_b64 s[20:21], vcc
	s_cbranch_execz .LBB0_91
; %bb.86:
	v_mov_b32_e32 v2, 16
	v_lshl_add_u32 v3, v14, 2, v2
	buffer_load_dword v13, v3, s[0:3], 0 offen offset:40
	v_pk_mov_b32 v[166:167], 0, 0
	v_pk_mov_b32 v[156:157], v[166:167], v[166:167] op_sel:[0,1]
	v_pk_mov_b32 v[154:155], v[166:167], v[166:167] op_sel:[0,1]
	;; [unrolled: 1-line block ×3, first 2 shown]
	s_waitcnt vmcnt(0)
	v_lshl_add_u32 v2, v13, 2, v2
	buffer_load_dword v12, v2, s[0:3], 0 offen offset:40
	s_waitcnt vmcnt(0)
	v_cmp_lt_i32_e32 vcc, -1, v12
	s_and_saveexec_b64 s[22:23], vcc
	s_cbranch_execz .LBB0_90
; %bb.87:
	buffer_load_dword v66, off, s[0:3], 0 offset:116 ; 4-byte Folded Reload
	buffer_load_dword v67, off, s[0:3], 0 offset:120 ; 4-byte Folded Reload
	;; [unrolled: 1-line block ×64, first 2 shown]
	v_mov_b32_e32 v145, v31
	v_cmp_eq_u32_e32 vcc, 1, v14
	v_pk_mov_b32 v[126:127], v[102:103], v[102:103] op_sel:[0,1]
	v_pk_mov_b32 v[128:129], v[110:111], v[110:111] op_sel:[0,1]
	v_cndmask_b32_e32 v2, v129, v127, vcc
	v_cmp_eq_u32_e64 s[6:7], 2, v14
	v_pk_mov_b32 v[130:131], v[108:109], v[108:109] op_sel:[0,1]
	v_cndmask_b32_e32 v3, v128, v126, vcc
	v_cndmask_b32_e64 v2, v2, v131, s[6:7]
	v_cmp_eq_u32_e64 s[8:9], 3, v14
	v_cndmask_b32_e64 v3, v3, v130, s[6:7]
	v_cmp_eq_u32_e64 s[10:11], 4, v14
	v_pk_mov_b32 v[34:35], v[116:117], v[116:117] op_sel:[0,1]
	v_cmp_eq_u32_e64 s[12:13], 5, v14
	v_cmp_eq_u32_e64 s[14:15], 6, v14
	;; [unrolled: 1-line block ×4, first 2 shown]
	v_pk_mov_b32 v[132:133], v[120:121], v[120:121] op_sel:[0,1]
	v_pk_mov_b32 v[142:143], 0, 0
	s_mov_b64 s[24:25], 0
	v_pk_mov_b32 v[154:155], v[142:143], v[142:143] op_sel:[0,1]
	v_pk_mov_b32 v[156:157], v[142:143], v[142:143] op_sel:[0,1]
	;; [unrolled: 1-line block ×3, first 2 shown]
	s_waitcnt vmcnt(56)
	v_pk_mov_b32 v[38:39], v[72:73], v[72:73] op_sel:[0,1]
	s_waitcnt vmcnt(20)
	v_mov_b32_e32 v29, v51
	buffer_load_dword v40, off, s[0:3], 0 offset:2548 ; 4-byte Folded Reload
	buffer_load_dword v41, off, s[0:3], 0 offset:2552 ; 4-byte Folded Reload
	;; [unrolled: 1-line block ×32, first 2 shown]
	v_cndmask_b32_e64 v2, v2, v39, s[8:9]
	v_cndmask_b32_e64 v3, v3, v38, s[8:9]
	;; [unrolled: 1-line block ×5, first 2 shown]
	s_waitcnt vmcnt(18)
	v_mov_b32_e32 v31, v53
	buffer_load_dword v40, off, s[0:3], 0 offset:2420 ; 4-byte Folded Reload
	buffer_load_dword v41, off, s[0:3], 0 offset:2424 ; 4-byte Folded Reload
	buffer_load_dword v42, off, s[0:3], 0 offset:2428 ; 4-byte Folded Reload
	buffer_load_dword v43, off, s[0:3], 0 offset:2432 ; 4-byte Folded Reload
	buffer_load_dword v44, off, s[0:3], 0 offset:2436 ; 4-byte Folded Reload
	buffer_load_dword v45, off, s[0:3], 0 offset:2440 ; 4-byte Folded Reload
	buffer_load_dword v46, off, s[0:3], 0 offset:2444 ; 4-byte Folded Reload
	buffer_load_dword v47, off, s[0:3], 0 offset:2448 ; 4-byte Folded Reload
	buffer_load_dword v48, off, s[0:3], 0 offset:2452 ; 4-byte Folded Reload
	buffer_load_dword v49, off, s[0:3], 0 offset:2456 ; 4-byte Folded Reload
	buffer_load_dword v50, off, s[0:3], 0 offset:2460 ; 4-byte Folded Reload
	buffer_load_dword v51, off, s[0:3], 0 offset:2464 ; 4-byte Folded Reload
	buffer_load_dword v52, off, s[0:3], 0 offset:2468 ; 4-byte Folded Reload
	buffer_load_dword v53, off, s[0:3], 0 offset:2472 ; 4-byte Folded Reload
	buffer_load_dword v54, off, s[0:3], 0 offset:2476 ; 4-byte Folded Reload
	buffer_load_dword v55, off, s[0:3], 0 offset:2480 ; 4-byte Folded Reload
	buffer_load_dword v56, off, s[0:3], 0 offset:2484 ; 4-byte Folded Reload
	buffer_load_dword v57, off, s[0:3], 0 offset:2488 ; 4-byte Folded Reload
	buffer_load_dword v58, off, s[0:3], 0 offset:2492 ; 4-byte Folded Reload
	buffer_load_dword v59, off, s[0:3], 0 offset:2496 ; 4-byte Folded Reload
	buffer_load_dword v60, off, s[0:3], 0 offset:2500 ; 4-byte Folded Reload
	buffer_load_dword v61, off, s[0:3], 0 offset:2504 ; 4-byte Folded Reload
	buffer_load_dword v62, off, s[0:3], 0 offset:2508 ; 4-byte Folded Reload
	buffer_load_dword v63, off, s[0:3], 0 offset:2512 ; 4-byte Folded Reload
	buffer_load_dword v64, off, s[0:3], 0 offset:2516 ; 4-byte Folded Reload
	buffer_load_dword v65, off, s[0:3], 0 offset:2520 ; 4-byte Folded Reload
	buffer_load_dword v66, off, s[0:3], 0 offset:2524 ; 4-byte Folded Reload
	buffer_load_dword v67, off, s[0:3], 0 offset:2528 ; 4-byte Folded Reload
	buffer_load_dword v68, off, s[0:3], 0 offset:2532 ; 4-byte Folded Reload
	buffer_load_dword v69, off, s[0:3], 0 offset:2536 ; 4-byte Folded Reload
	buffer_load_dword v70, off, s[0:3], 0 offset:2540 ; 4-byte Folded Reload
	buffer_load_dword v71, off, s[0:3], 0 offset:2544 ; 4-byte Folded Reload
	v_cndmask_b32_e64 v2, v2, v31, s[14:15]
	s_waitcnt vmcnt(16)
	v_mov_b32_e32 v149, v55
	buffer_load_dword v40, off, s[0:3], 0 offset:3188 ; 4-byte Folded Reload
	buffer_load_dword v41, off, s[0:3], 0 offset:3192 ; 4-byte Folded Reload
	buffer_load_dword v42, off, s[0:3], 0 offset:3196 ; 4-byte Folded Reload
	buffer_load_dword v43, off, s[0:3], 0 offset:3200 ; 4-byte Folded Reload
	buffer_load_dword v44, off, s[0:3], 0 offset:3204 ; 4-byte Folded Reload
	buffer_load_dword v45, off, s[0:3], 0 offset:3208 ; 4-byte Folded Reload
	buffer_load_dword v46, off, s[0:3], 0 offset:3212 ; 4-byte Folded Reload
	buffer_load_dword v47, off, s[0:3], 0 offset:3216 ; 4-byte Folded Reload
	buffer_load_dword v48, off, s[0:3], 0 offset:3220 ; 4-byte Folded Reload
	buffer_load_dword v49, off, s[0:3], 0 offset:3224 ; 4-byte Folded Reload
	buffer_load_dword v50, off, s[0:3], 0 offset:3228 ; 4-byte Folded Reload
	buffer_load_dword v51, off, s[0:3], 0 offset:3232 ; 4-byte Folded Reload
	buffer_load_dword v52, off, s[0:3], 0 offset:3236 ; 4-byte Folded Reload
	buffer_load_dword v53, off, s[0:3], 0 offset:3240 ; 4-byte Folded Reload
	buffer_load_dword v54, off, s[0:3], 0 offset:3244 ; 4-byte Folded Reload
	buffer_load_dword v55, off, s[0:3], 0 offset:3248 ; 4-byte Folded Reload
	buffer_load_dword v56, off, s[0:3], 0 offset:3252 ; 4-byte Folded Reload
	buffer_load_dword v57, off, s[0:3], 0 offset:3256 ; 4-byte Folded Reload
	buffer_load_dword v58, off, s[0:3], 0 offset:3260 ; 4-byte Folded Reload
	buffer_load_dword v59, off, s[0:3], 0 offset:3264 ; 4-byte Folded Reload
	buffer_load_dword v60, off, s[0:3], 0 offset:3268 ; 4-byte Folded Reload
	buffer_load_dword v61, off, s[0:3], 0 offset:3272 ; 4-byte Folded Reload
	buffer_load_dword v62, off, s[0:3], 0 offset:3276 ; 4-byte Folded Reload
	buffer_load_dword v63, off, s[0:3], 0 offset:3280 ; 4-byte Folded Reload
	buffer_load_dword v64, off, s[0:3], 0 offset:3284 ; 4-byte Folded Reload
	buffer_load_dword v65, off, s[0:3], 0 offset:3288 ; 4-byte Folded Reload
	buffer_load_dword v66, off, s[0:3], 0 offset:3292 ; 4-byte Folded Reload
	buffer_load_dword v67, off, s[0:3], 0 offset:3296 ; 4-byte Folded Reload
	buffer_load_dword v68, off, s[0:3], 0 offset:3300 ; 4-byte Folded Reload
	buffer_load_dword v69, off, s[0:3], 0 offset:3304 ; 4-byte Folded Reload
	buffer_load_dword v70, off, s[0:3], 0 offset:3308 ; 4-byte Folded Reload
	buffer_load_dword v71, off, s[0:3], 0 offset:3312 ; 4-byte Folded Reload
	v_cndmask_b32_e64 v2, v2, v149, s[16:17]
	;; [unrolled: 35-line block ×5, first 2 shown]
	s_waitcnt vmcnt(14)
	v_mov_b32_e32 v147, v57
	buffer_load_dword v40, off, s[0:3], 0 offset:2804 ; 4-byte Folded Reload
	buffer_load_dword v41, off, s[0:3], 0 offset:2808 ; 4-byte Folded Reload
	;; [unrolled: 1-line block ×64, first 2 shown]
	v_cndmask_b32_e64 v15, v2, v147, s[18:19]
	v_cndmask_b32_e32 v2, v27, v25, vcc
	v_cndmask_b32_e64 v2, v2, v23, s[6:7]
	v_cndmask_b32_e64 v2, v2, v133, s[8:9]
	s_waitcnt vmcnt(4)
	v_pk_mov_b32 v[94:95], v[118:119], v[118:119] op_sel:[0,1]
	v_pk_mov_b32 v[86:87], v[122:123], v[122:123] op_sel:[0,1]
	v_mov_b32_e32 v144, v56
	buffer_load_dword v40, off, s[0:3], 0 offset:1652 ; 4-byte Folded Reload
	buffer_load_dword v41, off, s[0:3], 0 offset:1656 ; 4-byte Folded Reload
	buffer_load_dword v42, off, s[0:3], 0 offset:1660 ; 4-byte Folded Reload
	buffer_load_dword v43, off, s[0:3], 0 offset:1664 ; 4-byte Folded Reload
	buffer_load_dword v44, off, s[0:3], 0 offset:1668 ; 4-byte Folded Reload
	buffer_load_dword v45, off, s[0:3], 0 offset:1672 ; 4-byte Folded Reload
	buffer_load_dword v46, off, s[0:3], 0 offset:1676 ; 4-byte Folded Reload
	buffer_load_dword v47, off, s[0:3], 0 offset:1680 ; 4-byte Folded Reload
	buffer_load_dword v48, off, s[0:3], 0 offset:1684 ; 4-byte Folded Reload
	buffer_load_dword v49, off, s[0:3], 0 offset:1688 ; 4-byte Folded Reload
	buffer_load_dword v50, off, s[0:3], 0 offset:1692 ; 4-byte Folded Reload
	buffer_load_dword v51, off, s[0:3], 0 offset:1696 ; 4-byte Folded Reload
	buffer_load_dword v52, off, s[0:3], 0 offset:1700 ; 4-byte Folded Reload
	buffer_load_dword v53, off, s[0:3], 0 offset:1704 ; 4-byte Folded Reload
	buffer_load_dword v54, off, s[0:3], 0 offset:1708 ; 4-byte Folded Reload
	buffer_load_dword v55, off, s[0:3], 0 offset:1712 ; 4-byte Folded Reload
	buffer_load_dword v56, off, s[0:3], 0 offset:1716 ; 4-byte Folded Reload
	buffer_load_dword v57, off, s[0:3], 0 offset:1720 ; 4-byte Folded Reload
	buffer_load_dword v58, off, s[0:3], 0 offset:1724 ; 4-byte Folded Reload
	buffer_load_dword v59, off, s[0:3], 0 offset:1728 ; 4-byte Folded Reload
	buffer_load_dword v60, off, s[0:3], 0 offset:1732 ; 4-byte Folded Reload
	buffer_load_dword v61, off, s[0:3], 0 offset:1736 ; 4-byte Folded Reload
	buffer_load_dword v62, off, s[0:3], 0 offset:1740 ; 4-byte Folded Reload
	buffer_load_dword v63, off, s[0:3], 0 offset:1744 ; 4-byte Folded Reload
	buffer_load_dword v64, off, s[0:3], 0 offset:1748 ; 4-byte Folded Reload
	buffer_load_dword v65, off, s[0:3], 0 offset:1752 ; 4-byte Folded Reload
	buffer_load_dword v66, off, s[0:3], 0 offset:1756 ; 4-byte Folded Reload
	buffer_load_dword v67, off, s[0:3], 0 offset:1760 ; 4-byte Folded Reload
	buffer_load_dword v68, off, s[0:3], 0 offset:1764 ; 4-byte Folded Reload
	buffer_load_dword v69, off, s[0:3], 0 offset:1768 ; 4-byte Folded Reload
	buffer_load_dword v70, off, s[0:3], 0 offset:1772 ; 4-byte Folded Reload
	buffer_load_dword v71, off, s[0:3], 0 offset:1776 ; 4-byte Folded Reload
	v_pk_mov_b32 v[88:89], v[76:77], v[76:77] op_sel:[0,1]
	v_cndmask_b32_e64 v14, v3, v144, s[18:19]
	v_cndmask_b32_e32 v3, v26, v24, vcc
	v_cndmask_b32_e64 v3, v3, v22, s[6:7]
	v_cndmask_b32_e64 v3, v3, v132, s[8:9]
	v_cndmask_b32_e64 v2, v2, v89, s[10:11]
	v_cndmask_b32_e64 v3, v3, v88, s[10:11]
	s_waitcnt vmcnt(20)
	v_mov_b32_e32 v141, v51
	buffer_load_dword v40, off, s[0:3], 0 offset:1524 ; 4-byte Folded Reload
	buffer_load_dword v41, off, s[0:3], 0 offset:1528 ; 4-byte Folded Reload
	buffer_load_dword v42, off, s[0:3], 0 offset:1532 ; 4-byte Folded Reload
	buffer_load_dword v43, off, s[0:3], 0 offset:1536 ; 4-byte Folded Reload
	buffer_load_dword v44, off, s[0:3], 0 offset:1540 ; 4-byte Folded Reload
	buffer_load_dword v45, off, s[0:3], 0 offset:1544 ; 4-byte Folded Reload
	buffer_load_dword v46, off, s[0:3], 0 offset:1548 ; 4-byte Folded Reload
	buffer_load_dword v47, off, s[0:3], 0 offset:1552 ; 4-byte Folded Reload
	buffer_load_dword v48, off, s[0:3], 0 offset:1556 ; 4-byte Folded Reload
	buffer_load_dword v49, off, s[0:3], 0 offset:1560 ; 4-byte Folded Reload
	buffer_load_dword v50, off, s[0:3], 0 offset:1564 ; 4-byte Folded Reload
	buffer_load_dword v51, off, s[0:3], 0 offset:1568 ; 4-byte Folded Reload
	buffer_load_dword v52, off, s[0:3], 0 offset:1572 ; 4-byte Folded Reload
	buffer_load_dword v53, off, s[0:3], 0 offset:1576 ; 4-byte Folded Reload
	buffer_load_dword v54, off, s[0:3], 0 offset:1580 ; 4-byte Folded Reload
	buffer_load_dword v55, off, s[0:3], 0 offset:1584 ; 4-byte Folded Reload
	buffer_load_dword v56, off, s[0:3], 0 offset:1588 ; 4-byte Folded Reload
	buffer_load_dword v57, off, s[0:3], 0 offset:1592 ; 4-byte Folded Reload
	buffer_load_dword v58, off, s[0:3], 0 offset:1596 ; 4-byte Folded Reload
	buffer_load_dword v59, off, s[0:3], 0 offset:1600 ; 4-byte Folded Reload
	buffer_load_dword v60, off, s[0:3], 0 offset:1604 ; 4-byte Folded Reload
	buffer_load_dword v61, off, s[0:3], 0 offset:1608 ; 4-byte Folded Reload
	buffer_load_dword v62, off, s[0:3], 0 offset:1612 ; 4-byte Folded Reload
	buffer_load_dword v63, off, s[0:3], 0 offset:1616 ; 4-byte Folded Reload
	buffer_load_dword v64, off, s[0:3], 0 offset:1620 ; 4-byte Folded Reload
	buffer_load_dword v65, off, s[0:3], 0 offset:1624 ; 4-byte Folded Reload
	buffer_load_dword v66, off, s[0:3], 0 offset:1628 ; 4-byte Folded Reload
	buffer_load_dword v67, off, s[0:3], 0 offset:1632 ; 4-byte Folded Reload
	buffer_load_dword v68, off, s[0:3], 0 offset:1636 ; 4-byte Folded Reload
	buffer_load_dword v69, off, s[0:3], 0 offset:1640 ; 4-byte Folded Reload
	buffer_load_dword v70, off, s[0:3], 0 offset:1644 ; 4-byte Folded Reload
	buffer_load_dword v71, off, s[0:3], 0 offset:1648 ; 4-byte Folded Reload
	v_cndmask_b32_e64 v2, v2, v141, s[12:13]
	s_waitcnt vmcnt(18)
	v_mov_b32_e32 v125, v53
	buffer_load_dword v40, off, s[0:3], 0 offset:1396 ; 4-byte Folded Reload
	buffer_load_dword v41, off, s[0:3], 0 offset:1400 ; 4-byte Folded Reload
	buffer_load_dword v42, off, s[0:3], 0 offset:1404 ; 4-byte Folded Reload
	buffer_load_dword v43, off, s[0:3], 0 offset:1408 ; 4-byte Folded Reload
	buffer_load_dword v44, off, s[0:3], 0 offset:1412 ; 4-byte Folded Reload
	buffer_load_dword v45, off, s[0:3], 0 offset:1416 ; 4-byte Folded Reload
	buffer_load_dword v46, off, s[0:3], 0 offset:1420 ; 4-byte Folded Reload
	buffer_load_dword v47, off, s[0:3], 0 offset:1424 ; 4-byte Folded Reload
	buffer_load_dword v48, off, s[0:3], 0 offset:1428 ; 4-byte Folded Reload
	buffer_load_dword v49, off, s[0:3], 0 offset:1432 ; 4-byte Folded Reload
	buffer_load_dword v50, off, s[0:3], 0 offset:1436 ; 4-byte Folded Reload
	buffer_load_dword v51, off, s[0:3], 0 offset:1440 ; 4-byte Folded Reload
	buffer_load_dword v52, off, s[0:3], 0 offset:1444 ; 4-byte Folded Reload
	buffer_load_dword v53, off, s[0:3], 0 offset:1448 ; 4-byte Folded Reload
	buffer_load_dword v54, off, s[0:3], 0 offset:1452 ; 4-byte Folded Reload
	buffer_load_dword v55, off, s[0:3], 0 offset:1456 ; 4-byte Folded Reload
	buffer_load_dword v56, off, s[0:3], 0 offset:1460 ; 4-byte Folded Reload
	buffer_load_dword v57, off, s[0:3], 0 offset:1464 ; 4-byte Folded Reload
	buffer_load_dword v58, off, s[0:3], 0 offset:1468 ; 4-byte Folded Reload
	buffer_load_dword v59, off, s[0:3], 0 offset:1472 ; 4-byte Folded Reload
	buffer_load_dword v60, off, s[0:3], 0 offset:1476 ; 4-byte Folded Reload
	buffer_load_dword v61, off, s[0:3], 0 offset:1480 ; 4-byte Folded Reload
	buffer_load_dword v62, off, s[0:3], 0 offset:1484 ; 4-byte Folded Reload
	buffer_load_dword v63, off, s[0:3], 0 offset:1488 ; 4-byte Folded Reload
	buffer_load_dword v64, off, s[0:3], 0 offset:1492 ; 4-byte Folded Reload
	buffer_load_dword v65, off, s[0:3], 0 offset:1496 ; 4-byte Folded Reload
	buffer_load_dword v66, off, s[0:3], 0 offset:1500 ; 4-byte Folded Reload
	buffer_load_dword v67, off, s[0:3], 0 offset:1504 ; 4-byte Folded Reload
	buffer_load_dword v68, off, s[0:3], 0 offset:1508 ; 4-byte Folded Reload
	buffer_load_dword v69, off, s[0:3], 0 offset:1512 ; 4-byte Folded Reload
	buffer_load_dword v70, off, s[0:3], 0 offset:1516 ; 4-byte Folded Reload
	buffer_load_dword v71, off, s[0:3], 0 offset:1520 ; 4-byte Folded Reload
	v_cndmask_b32_e64 v2, v2, v125, s[14:15]
	;; [unrolled: 35-line block ×7, first 2 shown]
	v_cndmask_b32_e32 v2, v153, v137, vcc
	v_cndmask_b32_e64 v2, v2, v159, s[6:7]
	v_cndmask_b32_e64 v2, v2, v95, s[8:9]
	;; [unrolled: 1-line block ×3, first 2 shown]
	s_waitcnt vmcnt(15)
	v_mov_b32_e32 v96, v56
	buffer_load_dword v54, off, s[0:3], 0 offset:756 ; 4-byte Folded Reload
	buffer_load_dword v55, off, s[0:3], 0 offset:760 ; 4-byte Folded Reload
	;; [unrolled: 1-line block ×32, first 2 shown]
	v_cndmask_b32_e64 v16, v3, v96, s[18:19]
	v_cndmask_b32_e32 v3, v152, v136, vcc
	v_cndmask_b32_e64 v3, v3, v158, s[6:7]
	v_cndmask_b32_e64 v3, v3, v94, s[8:9]
	;; [unrolled: 1-line block ×4, first 2 shown]
	v_cmp_eq_u32_e32 vcc, 1, v13
	v_cmp_eq_u32_e64 s[6:7], 2, v13
	v_cmp_eq_u32_e64 s[8:9], 3, v13
	;; [unrolled: 1-line block ×3, first 2 shown]
	s_waitcnt vmcnt(20)
	v_mov_b32_e32 v11, v65
	buffer_load_dword v54, off, s[0:3], 0 offset:628 ; 4-byte Folded Reload
	buffer_load_dword v55, off, s[0:3], 0 offset:632 ; 4-byte Folded Reload
	;; [unrolled: 1-line block ×32, first 2 shown]
	v_cndmask_b32_e64 v2, v2, v11, s[12:13]
	v_cmp_eq_u32_e64 s[12:13], 5, v13
	s_waitcnt vmcnt(18)
	v_mov_b32_e32 v93, v67
	buffer_load_dword v54, off, s[0:3], 0 offset:500 ; 4-byte Folded Reload
	buffer_load_dword v55, off, s[0:3], 0 offset:504 ; 4-byte Folded Reload
	buffer_load_dword v56, off, s[0:3], 0 offset:508 ; 4-byte Folded Reload
	buffer_load_dword v57, off, s[0:3], 0 offset:512 ; 4-byte Folded Reload
	buffer_load_dword v58, off, s[0:3], 0 offset:516 ; 4-byte Folded Reload
	buffer_load_dword v59, off, s[0:3], 0 offset:520 ; 4-byte Folded Reload
	buffer_load_dword v60, off, s[0:3], 0 offset:524 ; 4-byte Folded Reload
	buffer_load_dword v61, off, s[0:3], 0 offset:528 ; 4-byte Folded Reload
	buffer_load_dword v62, off, s[0:3], 0 offset:532 ; 4-byte Folded Reload
	buffer_load_dword v63, off, s[0:3], 0 offset:536 ; 4-byte Folded Reload
	buffer_load_dword v64, off, s[0:3], 0 offset:540 ; 4-byte Folded Reload
	buffer_load_dword v65, off, s[0:3], 0 offset:544 ; 4-byte Folded Reload
	buffer_load_dword v66, off, s[0:3], 0 offset:548 ; 4-byte Folded Reload
	buffer_load_dword v67, off, s[0:3], 0 offset:552 ; 4-byte Folded Reload
	buffer_load_dword v68, off, s[0:3], 0 offset:556 ; 4-byte Folded Reload
	buffer_load_dword v69, off, s[0:3], 0 offset:560 ; 4-byte Folded Reload
	buffer_load_dword v70, off, s[0:3], 0 offset:564 ; 4-byte Folded Reload
	buffer_load_dword v71, off, s[0:3], 0 offset:568 ; 4-byte Folded Reload
	buffer_load_dword v72, off, s[0:3], 0 offset:572 ; 4-byte Folded Reload
	buffer_load_dword v73, off, s[0:3], 0 offset:576 ; 4-byte Folded Reload
	buffer_load_dword v74, off, s[0:3], 0 offset:580 ; 4-byte Folded Reload
	buffer_load_dword v75, off, s[0:3], 0 offset:584 ; 4-byte Folded Reload
	buffer_load_dword v76, off, s[0:3], 0 offset:588 ; 4-byte Folded Reload
	buffer_load_dword v77, off, s[0:3], 0 offset:592 ; 4-byte Folded Reload
	buffer_load_dword v78, off, s[0:3], 0 offset:596 ; 4-byte Folded Reload
	buffer_load_dword v79, off, s[0:3], 0 offset:600 ; 4-byte Folded Reload
	buffer_load_dword v80, off, s[0:3], 0 offset:604 ; 4-byte Folded Reload
	buffer_load_dword v81, off, s[0:3], 0 offset:608 ; 4-byte Folded Reload
	buffer_load_dword v82, off, s[0:3], 0 offset:612 ; 4-byte Folded Reload
	buffer_load_dword v83, off, s[0:3], 0 offset:616 ; 4-byte Folded Reload
	buffer_load_dword v84, off, s[0:3], 0 offset:620 ; 4-byte Folded Reload
	buffer_load_dword v85, off, s[0:3], 0 offset:624 ; 4-byte Folded Reload
	v_cndmask_b32_e64 v2, v2, v93, s[14:15]
	s_waitcnt vmcnt(16)
	v_mov_b32_e32 v91, v69
	buffer_load_dword v40, off, s[0:3], 0 offset:1140 ; 4-byte Folded Reload
	buffer_load_dword v41, off, s[0:3], 0 offset:1144 ; 4-byte Folded Reload
	buffer_load_dword v42, off, s[0:3], 0 offset:1148 ; 4-byte Folded Reload
	buffer_load_dword v43, off, s[0:3], 0 offset:1152 ; 4-byte Folded Reload
	buffer_load_dword v44, off, s[0:3], 0 offset:1156 ; 4-byte Folded Reload
	buffer_load_dword v45, off, s[0:3], 0 offset:1160 ; 4-byte Folded Reload
	buffer_load_dword v46, off, s[0:3], 0 offset:1164 ; 4-byte Folded Reload
	buffer_load_dword v47, off, s[0:3], 0 offset:1168 ; 4-byte Folded Reload
	buffer_load_dword v48, off, s[0:3], 0 offset:1172 ; 4-byte Folded Reload
	buffer_load_dword v49, off, s[0:3], 0 offset:1176 ; 4-byte Folded Reload
	buffer_load_dword v50, off, s[0:3], 0 offset:1180 ; 4-byte Folded Reload
	buffer_load_dword v51, off, s[0:3], 0 offset:1184 ; 4-byte Folded Reload
	buffer_load_dword v52, off, s[0:3], 0 offset:1188 ; 4-byte Folded Reload
	buffer_load_dword v53, off, s[0:3], 0 offset:1192 ; 4-byte Folded Reload
	buffer_load_dword v54, off, s[0:3], 0 offset:1196 ; 4-byte Folded Reload
	buffer_load_dword v55, off, s[0:3], 0 offset:1200 ; 4-byte Folded Reload
	buffer_load_dword v56, off, s[0:3], 0 offset:1204 ; 4-byte Folded Reload
	buffer_load_dword v57, off, s[0:3], 0 offset:1208 ; 4-byte Folded Reload
	buffer_load_dword v58, off, s[0:3], 0 offset:1212 ; 4-byte Folded Reload
	buffer_load_dword v59, off, s[0:3], 0 offset:1216 ; 4-byte Folded Reload
	buffer_load_dword v60, off, s[0:3], 0 offset:1220 ; 4-byte Folded Reload
	buffer_load_dword v61, off, s[0:3], 0 offset:1224 ; 4-byte Folded Reload
	buffer_load_dword v62, off, s[0:3], 0 offset:1228 ; 4-byte Folded Reload
	buffer_load_dword v63, off, s[0:3], 0 offset:1232 ; 4-byte Folded Reload
	buffer_load_dword v64, off, s[0:3], 0 offset:1236 ; 4-byte Folded Reload
	buffer_load_dword v65, off, s[0:3], 0 offset:1240 ; 4-byte Folded Reload
	buffer_load_dword v66, off, s[0:3], 0 offset:1244 ; 4-byte Folded Reload
	buffer_load_dword v67, off, s[0:3], 0 offset:1248 ; 4-byte Folded Reload
	buffer_load_dword v68, off, s[0:3], 0 offset:1252 ; 4-byte Folded Reload
	buffer_load_dword v69, off, s[0:3], 0 offset:1256 ; 4-byte Folded Reload
	buffer_load_dword v70, off, s[0:3], 0 offset:1260 ; 4-byte Folded Reload
	buffer_load_dword v71, off, s[0:3], 0 offset:1264 ; 4-byte Folded Reload
	v_cndmask_b32_e64 v2, v2, v91, s[16:17]
	;; [unrolled: 35-line block ×3, first 2 shown]
	v_cmp_eq_u32_e64 s[14:15], 6, v13
	s_waitcnt vmcnt(17)
	v_mov_b32_e32 v90, v54
	buffer_load_dword v54, off, s[0:3], 0 offset:372 ; 4-byte Folded Reload
	buffer_load_dword v55, off, s[0:3], 0 offset:376 ; 4-byte Folded Reload
	;; [unrolled: 1-line block ×32, first 2 shown]
	v_cndmask_b32_e64 v3, v3, v90, s[16:17]
	v_cmp_eq_u32_e64 s[16:17], 7, v13
	s_waitcnt vmcnt(10)
	v_mov_b32_e32 v75, v71
	buffer_load_dword v42, off, s[0:3], 0 offset:884 ; 4-byte Folded Reload
	buffer_load_dword v43, off, s[0:3], 0 offset:888 ; 4-byte Folded Reload
	;; [unrolled: 1-line block ×33, first 2 shown]
	v_cndmask_b32_e64 v19, v2, v75, s[18:19]
	v_cndmask_b32_e32 v2, v27, v25, vcc
	v_cndmask_b32_e64 v2, v2, v23, s[6:7]
	v_cndmask_b32_e64 v2, v2, v133, s[8:9]
	v_cndmask_b32_e64 v2, v2, v89, s[10:11]
	v_cndmask_b32_e64 v2, v2, v141, s[12:13]
	v_cndmask_b32_e64 v2, v2, v125, s[14:15]
	v_cndmask_b32_e64 v2, v2, v99, s[16:17]
	s_waitcnt vmcnt(31)
	v_mov_b32_e32 v43, v29
	v_mov_b32_e32 v42, v28
	s_waitcnt vmcnt(21)
	v_mov_b32_e32 v53, v31
	s_waitcnt vmcnt(9)
	v_pk_mov_b32 v[64:65], v[22:23], v[22:23] op_sel:[0,1]
	s_waitcnt vmcnt(7)
	v_pk_mov_b32 v[66:67], v[24:25], v[24:25] op_sel:[0,1]
	;; [unrolled: 2-line block ×3, first 2 shown]
	v_cndmask_b32_e64 v18, v3, v58, s[18:19]
	v_cndmask_b32_e32 v3, v26, v24, vcc
	v_cndmask_b32_e64 v3, v3, v22, s[6:7]
	v_cndmask_b32_e64 v3, v3, v132, s[8:9]
	;; [unrolled: 1-line block ×5, first 2 shown]
	v_cmp_eq_u32_e64 s[18:19], 8, v13
	v_cndmask_b32_e64 v3, v3, v98, s[16:17]
	v_cndmask_b32_e64 v21, v2, v97, s[18:19]
	;; [unrolled: 1-line block ×3, first 2 shown]
	v_cndmask_b32_e32 v2, v129, v127, vcc
	v_cndmask_b32_e32 v3, v128, v126, vcc
	v_cndmask_b32_e64 v2, v2, v131, s[6:7]
	v_cndmask_b32_e64 v3, v3, v130, s[6:7]
	;; [unrolled: 1-line block ×14, first 2 shown]
	v_cndmask_b32_e32 v2, v153, v137, vcc
	v_cndmask_b32_e32 v3, v152, v136, vcc
	v_cndmask_b32_e64 v2, v2, v159, s[6:7]
	v_cndmask_b32_e64 v3, v3, v158, s[6:7]
	;; [unrolled: 1-line block ×14, first 2 shown]
	v_add_f64 v[36:37], v[20:21], -v[16:17]
	v_add_f64 v[32:33], v[28:29], -v[14:15]
	v_mul_f64 v[22:23], v[18:19], v[14:15]
	v_mul_f64 v[24:25], v[16:17], v[18:19]
	v_mul_f64 v[26:27], v[18:19], v[18:19]
.LBB0_88:                               ; =>This Inner Loop Header: Depth=1
	v_cmp_eq_u32_e32 vcc, 1, v12
	v_cmp_eq_u32_e64 s[6:7], 2, v12
	v_cmp_eq_u32_e64 s[8:9], 3, v12
	v_cmp_eq_u32_e64 s[10:11], 4, v12
	v_cmp_eq_u32_e64 s[12:13], 5, v12
	v_cmp_eq_u32_e64 s[14:15], 6, v12
	v_cmp_eq_u32_e64 s[16:17], 7, v12
	v_cmp_eq_u32_e64 s[18:19], 8, v12
	s_waitcnt vmcnt(0)
	v_lshl_add_u32 v12, v12, 2, v70
	buffer_load_dword v12, v12, s[0:3], 0 offen
	v_cndmask_b32_e32 v13, v129, v127, vcc
	v_cndmask_b32_e64 v13, v13, v131, s[6:7]
	v_cndmask_b32_e64 v13, v13, v39, s[8:9]
	;; [unrolled: 1-line block ×5, first 2 shown]
	v_cndmask_b32_e32 v40, v128, v126, vcc
	v_cndmask_b32_e64 v13, v13, v149, s[16:17]
	v_cndmask_b32_e64 v40, v40, v130, s[6:7]
	;; [unrolled: 1-line block ×3, first 2 shown]
	v_cndmask_b32_e32 v13, v69, v67, vcc
	v_cndmask_b32_e32 v44, v68, v66, vcc
	v_cndmask_b32_e64 v40, v40, v38, s[8:9]
	v_cndmask_b32_e64 v13, v13, v65, s[6:7]
	;; [unrolled: 1-line block ×20, first 2 shown]
	v_add_f64 v[46:47], v[40:41], -v[14:15]
	v_mul_f64 v[36:37], v[46:47], v[36:37]
	v_add_f64 v[48:49], v[44:45], -v[16:17]
	v_fma_f64 v[32:33], v[48:49], v[32:33], -v[36:37]
	v_cndmask_b32_e32 v13, v153, v137, vcc
	v_cndmask_b32_e32 v36, v152, v136, vcc
	v_cndmask_b32_e64 v13, v13, v159, s[6:7]
	v_cndmask_b32_e64 v36, v36, v158, s[6:7]
	;; [unrolled: 1-line block ×14, first 2 shown]
	v_fma_f64 v[54:55], v[30:31], v[30:31], v[26:27]
	v_fmac_f64_e32 v[54:55], v[50:51], v[50:51]
	v_fmac_f64_e32 v[54:55], v[18:19], v[30:31]
	;; [unrolled: 1-line block ×3, first 2 shown]
	v_add_f64 v[56:57], v[18:19], v[30:31]
	v_add_f64 v[36:37], v[14:15], v[28:29]
	v_fma_f64 v[28:29], v[28:29], v[30:31], v[22:23]
	v_fmac_f64_e32 v[54:55], v[50:51], v[30:31]
	v_fma_f64 v[30:31], v[20:21], v[30:31], v[24:25]
	v_add_f64 v[20:21], v[16:17], v[20:21]
	v_add_f64 v[56:57], v[50:51], v[56:57]
	;; [unrolled: 1-line block ×4, first 2 shown]
	v_fmac_f64_e32 v[142:143], v[56:57], v[32:33]
	v_mul_f64 v[56:57], v[56:57], v[32:33]
	v_mul_f64 v[36:37], v[36:37], v[56:57]
	;; [unrolled: 1-line block ×3, first 2 shown]
	v_fmac_f64_e32 v[28:29], v[50:51], v[40:41]
	v_fmac_f64_e32 v[30:31], v[44:45], v[50:51]
	;; [unrolled: 1-line block ×5, first 2 shown]
	v_add_f64 v[154:155], v[154:155], v[36:37]
	v_add_f64 v[156:157], v[156:157], v[20:21]
	v_pk_mov_b32 v[28:29], v[40:41], v[40:41] op_sel:[0,1]
	v_pk_mov_b32 v[20:21], v[44:45], v[44:45] op_sel:[0,1]
	;; [unrolled: 1-line block ×3, first 2 shown]
	s_waitcnt vmcnt(0)
	v_cmp_gt_i32_e32 vcc, 0, v12
	v_pk_mov_b32 v[32:33], v[46:47], v[46:47] op_sel:[0,1]
	s_or_b64 s[24:25], vcc, s[24:25]
	v_pk_mov_b32 v[30:31], v[50:51], v[50:51] op_sel:[0,1]
	s_andn2_b64 exec, exec, s[24:25]
	s_cbranch_execnz .LBB0_88
; %bb.89:
	s_or_b64 exec, exec, s[24:25]
	buffer_load_dword v32, off, s[0:3], 0 offset:3572 ; 4-byte Folded Reload
	buffer_load_dword v33, off, s[0:3], 0 offset:3576 ; 4-byte Folded Reload
	buffer_load_dword v34, off, s[0:3], 0 offset:3580 ; 4-byte Folded Reload
	buffer_load_dword v35, off, s[0:3], 0 offset:3584 ; 4-byte Folded Reload
	buffer_load_dword v36, off, s[0:3], 0 offset:3588 ; 4-byte Folded Reload
	buffer_load_dword v37, off, s[0:3], 0 offset:3592 ; 4-byte Folded Reload
	buffer_load_dword v38, off, s[0:3], 0 offset:3596 ; 4-byte Folded Reload
	buffer_load_dword v39, off, s[0:3], 0 offset:3600 ; 4-byte Folded Reload
	buffer_load_dword v40, off, s[0:3], 0 offset:3604 ; 4-byte Folded Reload
	buffer_load_dword v41, off, s[0:3], 0 offset:3608 ; 4-byte Folded Reload
	buffer_load_dword v42, off, s[0:3], 0 offset:3612 ; 4-byte Folded Reload
	buffer_load_dword v43, off, s[0:3], 0 offset:3616 ; 4-byte Folded Reload
	buffer_load_dword v44, off, s[0:3], 0 offset:3620 ; 4-byte Folded Reload
	buffer_load_dword v45, off, s[0:3], 0 offset:3624 ; 4-byte Folded Reload
	buffer_load_dword v46, off, s[0:3], 0 offset:3628 ; 4-byte Folded Reload
	buffer_load_dword v47, off, s[0:3], 0 offset:3632 ; 4-byte Folded Reload
	buffer_load_dword v48, off, s[0:3], 0 offset:3636 ; 4-byte Folded Reload
	buffer_load_dword v49, off, s[0:3], 0 offset:3640 ; 4-byte Folded Reload
	buffer_load_dword v50, off, s[0:3], 0 offset:3644 ; 4-byte Folded Reload
	buffer_load_dword v51, off, s[0:3], 0 offset:3648 ; 4-byte Folded Reload
	buffer_load_dword v52, off, s[0:3], 0 offset:3652 ; 4-byte Folded Reload
	buffer_load_dword v53, off, s[0:3], 0 offset:3656 ; 4-byte Folded Reload
	buffer_load_dword v54, off, s[0:3], 0 offset:3660 ; 4-byte Folded Reload
	buffer_load_dword v55, off, s[0:3], 0 offset:3664 ; 4-byte Folded Reload
	buffer_load_dword v56, off, s[0:3], 0 offset:3668 ; 4-byte Folded Reload
	buffer_load_dword v57, off, s[0:3], 0 offset:3672 ; 4-byte Folded Reload
	buffer_load_dword v58, off, s[0:3], 0 offset:3676 ; 4-byte Folded Reload
	buffer_load_dword v59, off, s[0:3], 0 offset:3680 ; 4-byte Folded Reload
	buffer_load_dword v60, off, s[0:3], 0 offset:3684 ; 4-byte Folded Reload
	buffer_load_dword v61, off, s[0:3], 0 offset:3688 ; 4-byte Folded Reload
	buffer_load_dword v62, off, s[0:3], 0 offset:3692 ; 4-byte Folded Reload
	buffer_load_dword v63, off, s[0:3], 0 offset:3696 ; 4-byte Folded Reload
	s_mov_b32 s6, 0x43d00
	v_mov_b32_e32 v31, v145
	s_waitcnt vmcnt(16)
	v_mov_b32_e32 v33, v47
	buffer_load_dword v34, off, s[0:3], 0 offset:3700 ; 4-byte Folded Reload
	buffer_load_dword v35, off, s[0:3], 0 offset:3704 ; 4-byte Folded Reload
	;; [unrolled: 1-line block ×32, first 2 shown]
	s_waitcnt vmcnt(18)
	v_mov_b32_e32 v15, v47
	buffer_load_dword v34, off, s[0:3], 0 offset:3828 ; 4-byte Folded Reload
	buffer_load_dword v35, off, s[0:3], 0 offset:3832 ; 4-byte Folded Reload
	;; [unrolled: 1-line block ×32, first 2 shown]
	s_waitcnt vmcnt(20)
	v_mov_b32_e32 v17, v45
	buffer_load_dword v34, off, s[0:3], s6  ; 4-byte Folded Reload
	buffer_load_dword v35, off, s[0:3], s6 offset:4 ; 4-byte Folded Reload
	buffer_load_dword v36, off, s[0:3], s6 offset:8 ; 4-byte Folded Reload
	;; [unrolled: 1-line block ×31, first 2 shown]
	s_mov_b32 s6, 0x3fd00
	s_waitcnt vmcnt(15)
	v_mov_b32_e32 v16, v50
	buffer_load_dword v34, off, s[0:3], 0 offset:3956 ; 4-byte Folded Reload
	buffer_load_dword v35, off, s[0:3], 0 offset:3960 ; 4-byte Folded Reload
	;; [unrolled: 1-line block ×32, first 2 shown]
	s_waitcnt vmcnt(17)
	v_mov_b32_e32 v18, v48
	buffer_load_dword v34, off, s[0:3], s6  ; 4-byte Folded Reload
	buffer_load_dword v35, off, s[0:3], s6 offset:4 ; 4-byte Folded Reload
	buffer_load_dword v36, off, s[0:3], s6 offset:8 ; 4-byte Folded Reload
	;; [unrolled: 1-line block ×31, first 2 shown]
	s_mov_b32 s6, 0x41d00
	s_waitcnt vmcnt(19)
	v_mov_b32_e32 v20, v46
	buffer_load_dword v34, off, s[0:3], s6  ; 4-byte Folded Reload
	buffer_load_dword v35, off, s[0:3], s6 offset:4 ; 4-byte Folded Reload
	buffer_load_dword v36, off, s[0:3], s6 offset:8 ; 4-byte Folded Reload
	buffer_load_dword v37, off, s[0:3], s6 offset:12 ; 4-byte Folded Reload
	buffer_load_dword v38, off, s[0:3], s6 offset:16 ; 4-byte Folded Reload
	buffer_load_dword v39, off, s[0:3], s6 offset:20 ; 4-byte Folded Reload
	buffer_load_dword v40, off, s[0:3], s6 offset:24 ; 4-byte Folded Reload
	buffer_load_dword v41, off, s[0:3], s6 offset:28 ; 4-byte Folded Reload
	buffer_load_dword v42, off, s[0:3], s6 offset:32 ; 4-byte Folded Reload
	buffer_load_dword v43, off, s[0:3], s6 offset:36 ; 4-byte Folded Reload
	buffer_load_dword v44, off, s[0:3], s6 offset:40 ; 4-byte Folded Reload
	buffer_load_dword v45, off, s[0:3], s6 offset:44 ; 4-byte Folded Reload
	buffer_load_dword v46, off, s[0:3], s6 offset:48 ; 4-byte Folded Reload
	buffer_load_dword v47, off, s[0:3], s6 offset:52 ; 4-byte Folded Reload
	buffer_load_dword v48, off, s[0:3], s6 offset:56 ; 4-byte Folded Reload
	buffer_load_dword v49, off, s[0:3], s6 offset:60 ; 4-byte Folded Reload
	buffer_load_dword v50, off, s[0:3], s6 offset:64 ; 4-byte Folded Reload
	buffer_load_dword v51, off, s[0:3], s6 offset:68 ; 4-byte Folded Reload
	buffer_load_dword v52, off, s[0:3], s6 offset:72 ; 4-byte Folded Reload
	buffer_load_dword v53, off, s[0:3], s6 offset:76 ; 4-byte Folded Reload
	buffer_load_dword v54, off, s[0:3], s6 offset:80 ; 4-byte Folded Reload
	buffer_load_dword v55, off, s[0:3], s6 offset:84 ; 4-byte Folded Reload
	buffer_load_dword v56, off, s[0:3], s6 offset:88 ; 4-byte Folded Reload
	buffer_load_dword v57, off, s[0:3], s6 offset:92 ; 4-byte Folded Reload
	buffer_load_dword v58, off, s[0:3], s6 offset:96 ; 4-byte Folded Reload
	buffer_load_dword v59, off, s[0:3], s6 offset:100 ; 4-byte Folded Reload
	buffer_load_dword v60, off, s[0:3], s6 offset:104 ; 4-byte Folded Reload
	buffer_load_dword v61, off, s[0:3], s6 offset:108 ; 4-byte Folded Reload
	buffer_load_dword v62, off, s[0:3], s6 offset:112 ; 4-byte Folded Reload
	buffer_load_dword v63, off, s[0:3], s6 offset:116 ; 4-byte Folded Reload
	buffer_load_dword v64, off, s[0:3], s6 offset:120 ; 4-byte Folded Reload
	buffer_load_dword v65, off, s[0:3], s6 offset:124 ; 4-byte Folded Reload
	s_waitcnt vmcnt(21)
	v_mov_b32_e32 v28, v44
.LBB0_90:
	s_or_b64 exec, exec, s[22:23]
.LBB0_91:
	s_or_b64 exec, exec, s[20:21]
	s_and_saveexec_b64 s[22:23], s[4:5]
	s_cbranch_execz .LBB0_95
; %bb.92:
	s_mov_b32 s26, 0x4ad4b81f
	s_mov_b64 s[24:25], 0
	s_mov_b32 s27, 0xb58dee7a
	v_mov_b32_e32 v10, 16
	v_mov_b32_e32 v11, v113
.LBB0_93:                               ; =>This Inner Loop Header: Depth=1
	v_cmp_eq_u32_e32 vcc, 1, v11
	v_cmp_eq_u32_e64 s[6:7], 2, v11
	v_cmp_eq_u32_e64 s[8:9], 3, v11
	;; [unrolled: 1-line block ×8, first 2 shown]
	v_lshl_add_u32 v11, v11, 2, v10
	buffer_load_dword v11, v11, s[0:3], 0 offen
	v_cndmask_b32_e32 v12, v163, v161, vcc
	v_cndmask_b32_e32 v13, v162, v160, vcc
	v_cndmask_b32_e64 v12, v12, v165, s[6:7]
	v_cndmask_b32_e64 v13, v13, v164, s[6:7]
	;; [unrolled: 1-line block ×14, first 2 shown]
	v_add_f64 v[12:13], -v[12:13], s[26:27]
	v_cndmask_b32_e32 v161, v161, v13, vcc
	v_cndmask_b32_e32 v160, v160, v12, vcc
	v_cndmask_b32_e64 v31, v31, v13, s[18:19]
	v_cndmask_b32_e64 v16, v16, v12, s[18:19]
	;; [unrolled: 1-line block ×16, first 2 shown]
	s_waitcnt vmcnt(0)
	v_cmp_gt_i32_e32 vcc, 0, v11
	s_or_b64 s[24:25], vcc, s[24:25]
	s_andn2_b64 exec, exec, s[24:25]
	s_cbranch_execnz .LBB0_93
; %bb.94:
	s_or_b64 exec, exec, s[24:25]
	v_cmp_eq_u32_e32 vcc, 1, v113
	v_cndmask_b32_e32 v10, v163, v161, vcc
	v_cmp_eq_u32_e64 s[6:7], 2, v113
	v_cndmask_b32_e32 v11, v162, v160, vcc
	v_cndmask_b32_e64 v10, v10, v165, s[6:7]
	v_cmp_eq_u32_e64 s[8:9], 3, v113
	v_cndmask_b32_e64 v11, v11, v164, s[6:7]
	v_cndmask_b32_e64 v10, v10, v101, s[8:9]
	v_cmp_eq_u32_e64 s[10:11], 4, v113
	v_cndmask_b32_e64 v11, v11, v100, s[8:9]
	;; [unrolled: 3-line block ×5, first 2 shown]
	v_cndmask_b32_e64 v10, v10, v33, s[16:17]
	v_cndmask_b32_e64 v12, v11, v18, s[16:17]
	v_cmp_eq_u32_e32 vcc, 8, v113
	v_cndmask_b32_e32 v139, v10, v31, vcc
	v_cndmask_b32_e32 v138, v12, v16, vcc
.LBB0_95:
	s_or_b64 exec, exec, s[22:23]
	v_pk_mov_b32 v[90:91], -1, -1
	v_mov_b32_e32 v10, v28
	v_mov_b32_e32 v30, v20
	;; [unrolled: 1-line block ×5, first 2 shown]
	v_mov_b32_e32 v125, -1
	v_pk_mov_b32 v[18:19], v[90:91], v[90:91] op_sel:[0,1]
	v_pk_mov_b32 v[140:141], v[138:139], v[138:139] op_sel:[0,1]
	v_mov_b32_e32 v126, -1
	s_and_saveexec_b64 s[14:15], s[4:5]
	s_cbranch_execz .LBB0_99
; %bb.96:
	s_mov_b64 s[16:17], 0
	v_mov_b32_e32 v125, -1
	v_mov_b32_e32 v12, 16
	v_mov_b32_e32 v13, v113
	v_mov_b32_e32 v90, -1
	v_mov_b32_e32 v18, -1
	;; [unrolled: 1-line block ×3, first 2 shown]
	v_pk_mov_b32 v[20:21], v[138:139], v[138:139] op_sel:[0,1]
	v_mov_b32_e32 v27, v25
	v_mov_b32_e32 v29, v11
	;; [unrolled: 1-line block ×6, first 2 shown]
.LBB0_97:                               ; =>This Inner Loop Header: Depth=1
	v_lshl_add_u32 v14, v13, 2, v12
	buffer_load_dword v17, v14, s[0:3], 0 offen
	v_pk_mov_b32 v[140:141], v[20:21], v[20:21] op_sel:[0,1]
	s_waitcnt vmcnt(0)
	v_cmp_gt_i32_e32 vcc, 0, v17
	v_cndmask_b32_e32 v19, v17, v113, vcc
	v_cmp_eq_u32_e64 s[6:7], 1, v19
	v_cndmask_b32_e64 v14, v163, v161, s[6:7]
	v_cmp_eq_u32_e64 s[8:9], 2, v19
	v_cndmask_b32_e64 v15, v162, v160, s[6:7]
	v_cndmask_b32_e64 v14, v14, v165, s[8:9]
	v_cmp_eq_u32_e64 s[10:11], 3, v19
	v_cndmask_b32_e64 v15, v15, v164, s[8:9]
	;; [unrolled: 3-line block ×6, first 2 shown]
	v_cndmask_b32_e64 v14, v14, v33, s[8:9]
	v_cndmask_b32_e64 v15, v15, v28, s[8:9]
	v_cmp_eq_u32_e64 s[6:7], 8, v19
	v_cndmask_b32_e64 v23, v14, v31, s[6:7]
	v_cndmask_b32_e64 v22, v15, v24, s[6:7]
	v_cmp_le_f64_e64 s[6:7], 0, v[140:141]
	v_cmp_gt_f64_e64 s[8:9], 0, v[140:141]
	v_cmp_gt_f64_e64 s[10:11], 0, v[22:23]
	v_cmp_le_f64_e64 s[12:13], 0, v[22:23]
	s_and_b64 s[6:7], s[6:7], s[10:11]
	s_and_b64 s[8:9], s[8:9], s[12:13]
	v_cndmask_b32_e64 v18, v18, v19, s[6:7]
	v_cndmask_b32_e64 v126, v126, v19, s[8:9]
	;; [unrolled: 1-line block ×4, first 2 shown]
	s_or_b64 s[16:17], vcc, s[16:17]
	v_mov_b32_e32 v13, v17
	v_pk_mov_b32 v[20:21], v[22:23], v[22:23] op_sel:[0,1]
	s_andn2_b64 exec, exec, s[16:17]
	s_cbranch_execnz .LBB0_97
; %bb.98:
	s_or_b64 exec, exec, s[16:17]
.LBB0_99:
	s_or_b64 exec, exec, s[14:15]
	v_cmp_lt_i32_e64 s[6:7], -1, v125
	v_mov_b32_e32 v0, -1
	v_mov_b32_e32 v12, -1
	;; [unrolled: 1-line block ×3, first 2 shown]
	s_and_saveexec_b64 s[58:59], s[6:7]
	s_cbranch_execz .LBB0_101
; %bb.100:
	v_cmp_eq_u32_e64 s[8:9], 1, v18
	v_cndmask_b32_e64 v12, v163, v161, s[8:9]
	v_cmp_eq_u32_e64 s[10:11], 2, v18
	v_cndmask_b32_e64 v12, v12, v165, s[10:11]
	;; [unrolled: 2-line block ×5, first 2 shown]
	buffer_store_dword v0, off, s[0:3], 0 offset:3828 ; 4-byte Folded Spill
	s_nop 0
	buffer_store_dword v1, off, s[0:3], 0 offset:3832 ; 4-byte Folded Spill
	buffer_store_dword v2, off, s[0:3], 0 offset:3836 ; 4-byte Folded Spill
	;; [unrolled: 1-line block ×31, first 2 shown]
	s_mov_b32 s24, 0x41d00
	v_cmp_eq_u32_e64 s[26:27], 2, v125
	v_cmp_eq_u32_e64 s[28:29], 3, v125
	;; [unrolled: 1-line block ×11, first 2 shown]
	v_pk_mov_b32 v[80:81], v[104:105], v[104:105] op_sel:[0,1]
	v_pk_mov_b32 v[78:79], v[114:115], v[114:115] op_sel:[0,1]
	v_cmp_eq_u32_e64 s[18:19], 6, v18
	v_cndmask_b32_e64 v12, v12, v25, s[18:19]
	buffer_store_dword v12, off, s[0:3], 0 offset:3700 ; 4-byte Folded Spill
	s_nop 0
	buffer_store_dword v13, off, s[0:3], 0 offset:3704 ; 4-byte Folded Spill
	buffer_store_dword v14, off, s[0:3], 0 offset:3708 ; 4-byte Folded Spill
	;; [unrolled: 1-line block ×31, first 2 shown]
	v_cndmask_b32_e64 v13, v162, v160, s[8:9]
	v_cndmask_b32_e64 v13, v13, v164, s[10:11]
	;; [unrolled: 1-line block ×5, first 2 shown]
	v_cmp_eq_u32_e64 s[20:21], 7, v18
	v_cndmask_b32_e64 v12, v12, v33, s[20:21]
	v_cmp_eq_u32_e64 s[22:23], 8, v18
	buffer_store_dword v0, off, s[0:3], s24 ; 4-byte Folded Spill
	s_nop 0
	buffer_store_dword v1, off, s[0:3], s24 offset:4 ; 4-byte Folded Spill
	buffer_store_dword v2, off, s[0:3], s24 offset:8 ; 4-byte Folded Spill
	;; [unrolled: 1-line block ×31, first 2 shown]
	s_mov_b32 s24, 0x3fd00
	v_cndmask_b32_e64 v13, v13, v30, s[18:19]
	s_waitcnt vmcnt(62)
	buffer_store_dword v18, off, s[0:3], s24 ; 4-byte Folded Spill
	s_nop 0
	buffer_store_dword v19, off, s[0:3], s24 offset:4 ; 4-byte Folded Spill
	buffer_store_dword v20, off, s[0:3], s24 offset:8 ; 4-byte Folded Spill
	;; [unrolled: 1-line block ×31, first 2 shown]
	v_cmp_eq_u32_e64 s[24:25], 1, v125
	v_cndmask_b32_e64 v13, v13, v26, s[20:21]
	buffer_store_dword v12, off, s[0:3], 0 offset:3956 ; 4-byte Folded Spill
	s_nop 0
	buffer_store_dword v13, off, s[0:3], 0 offset:3960 ; 4-byte Folded Spill
	buffer_store_dword v14, off, s[0:3], 0 offset:3964 ; 4-byte Folded Spill
	;; [unrolled: 1-line block ×32, first 2 shown]
	s_nop 0
	buffer_store_dword v19, off, s[0:3], 0 offset:3576 ; 4-byte Folded Spill
	buffer_store_dword v20, off, s[0:3], 0 offset:3580 ; 4-byte Folded Spill
	;; [unrolled: 1-line block ×31, first 2 shown]
	v_mov_b32_e32 v98, v16
	v_cndmask_b32_e64 v76, v13, v98, s[22:23]
	v_cndmask_b32_e64 v13, v162, v160, s[24:25]
	;; [unrolled: 1-line block ×18, first 2 shown]
	v_add_f64 v[12:13], -v[76:77], 0
	v_add_f64 v[22:23], v[82:83], -v[76:77]
	v_div_scale_f64 v[24:25], s[40:41], v[22:23], v[22:23], v[12:13]
	buffer_store_dword v14, off, s[0:3], 0 offset:3316 ; 4-byte Folded Spill
	s_nop 0
	buffer_store_dword v15, off, s[0:3], 0 offset:3320 ; 4-byte Folded Spill
	buffer_store_dword v16, off, s[0:3], 0 offset:3324 ; 4-byte Folded Spill
	buffer_store_dword v17, off, s[0:3], 0 offset:3328 ; 4-byte Folded Spill
	buffer_store_dword v18, off, s[0:3], 0 offset:3332 ; 4-byte Folded Spill
	buffer_store_dword v19, off, s[0:3], 0 offset:3336 ; 4-byte Folded Spill
	buffer_store_dword v20, off, s[0:3], 0 offset:3340 ; 4-byte Folded Spill
	buffer_store_dword v21, off, s[0:3], 0 offset:3344 ; 4-byte Folded Spill
	buffer_store_dword v22, off, s[0:3], 0 offset:3348 ; 4-byte Folded Spill
	buffer_store_dword v23, off, s[0:3], 0 offset:3352 ; 4-byte Folded Spill
	buffer_store_dword v24, off, s[0:3], 0 offset:3356 ; 4-byte Folded Spill
	buffer_store_dword v25, off, s[0:3], 0 offset:3360 ; 4-byte Folded Spill
	buffer_store_dword v26, off, s[0:3], 0 offset:3364 ; 4-byte Folded Spill
	buffer_store_dword v27, off, s[0:3], 0 offset:3368 ; 4-byte Folded Spill
	buffer_store_dword v28, off, s[0:3], 0 offset:3372 ; 4-byte Folded Spill
	buffer_store_dword v29, off, s[0:3], 0 offset:3376 ; 4-byte Folded Spill
	buffer_store_dword v30, off, s[0:3], 0 offset:3380 ; 4-byte Folded Spill
	buffer_store_dword v31, off, s[0:3], 0 offset:3384 ; 4-byte Folded Spill
	buffer_store_dword v32, off, s[0:3], 0 offset:3388 ; 4-byte Folded Spill
	buffer_store_dword v33, off, s[0:3], 0 offset:3392 ; 4-byte Folded Spill
	buffer_store_dword v34, off, s[0:3], 0 offset:3396 ; 4-byte Folded Spill
	buffer_store_dword v35, off, s[0:3], 0 offset:3400 ; 4-byte Folded Spill
	buffer_store_dword v36, off, s[0:3], 0 offset:3404 ; 4-byte Folded Spill
	buffer_store_dword v37, off, s[0:3], 0 offset:3408 ; 4-byte Folded Spill
	buffer_store_dword v38, off, s[0:3], 0 offset:3412 ; 4-byte Folded Spill
	buffer_store_dword v39, off, s[0:3], 0 offset:3416 ; 4-byte Folded Spill
	buffer_store_dword v40, off, s[0:3], 0 offset:3420 ; 4-byte Folded Spill
	buffer_store_dword v41, off, s[0:3], 0 offset:3424 ; 4-byte Folded Spill
	buffer_store_dword v42, off, s[0:3], 0 offset:3428 ; 4-byte Folded Spill
	buffer_store_dword v43, off, s[0:3], 0 offset:3432 ; 4-byte Folded Spill
	buffer_store_dword v44, off, s[0:3], 0 offset:3436 ; 4-byte Folded Spill
	buffer_store_dword v45, off, s[0:3], 0 offset:3440 ; 4-byte Folded Spill
	buffer_load_dword v40, off, s[0:3], 0 offset:116 ; 4-byte Folded Reload
	s_nop 0
	buffer_load_dword v41, off, s[0:3], 0 offset:120 ; 4-byte Folded Reload
	buffer_load_dword v42, off, s[0:3], 0 offset:124 ; 4-byte Folded Reload
	;; [unrolled: 1-line block ×31, first 2 shown]
	v_cmp_eq_u32_e64 s[40:41], 3, v124
	v_rcp_f64_e32 v[30:31], v[24:25]
	v_fma_f64 v[32:33], -v[24:25], v[30:31], 1.0
	v_fmac_f64_e32 v[30:31], v[30:31], v[32:33]
	v_fma_f64 v[32:33], -v[24:25], v[30:31], 1.0
	v_fmac_f64_e32 v[30:31], v[30:31], v[32:33]
	v_div_scale_f64 v[32:33], vcc, v[12:13], v[22:23], v[12:13]
	v_mul_f64 v[36:37], v[32:33], v[30:31]
	v_fma_f64 v[24:25], -v[24:25], v[36:37], v[32:33]
	s_waitcnt vmcnt(12)
	v_pk_mov_b32 v[58:59], v[46:47], v[46:47] op_sel:[0,1]
	v_div_fmas_f64 v[24:25], v[24:25], v[30:31], v[36:37]
	v_div_fixup_f64 v[84:85], v[24:25], v[22:23], v[12:13]
	buffer_load_dword v14, off, s[0:3], 0 offset:2676 ; 4-byte Folded Reload
	buffer_load_dword v15, off, s[0:3], 0 offset:2680 ; 4-byte Folded Reload
	;; [unrolled: 1-line block ×32, first 2 shown]
	v_cndmask_b32_e64 v12, v111, v103, s[24:25]
	v_cndmask_b32_e64 v13, v110, v102, s[24:25]
	;; [unrolled: 1-line block ×8, first 2 shown]
	v_add_f64 v[96:97], -v[84:85], 1.0
	v_cmp_eq_u32_e32 vcc, 4, v124
	s_waitcnt vmcnt(20)
	v_mov_b32_e32 v57, v25
	buffer_load_dword v14, off, s[0:3], 0 offset:2548 ; 4-byte Folded Reload
	buffer_load_dword v15, off, s[0:3], 0 offset:2552 ; 4-byte Folded Reload
	buffer_load_dword v16, off, s[0:3], 0 offset:2556 ; 4-byte Folded Reload
	buffer_load_dword v17, off, s[0:3], 0 offset:2560 ; 4-byte Folded Reload
	buffer_load_dword v18, off, s[0:3], 0 offset:2564 ; 4-byte Folded Reload
	buffer_load_dword v19, off, s[0:3], 0 offset:2568 ; 4-byte Folded Reload
	buffer_load_dword v20, off, s[0:3], 0 offset:2572 ; 4-byte Folded Reload
	buffer_load_dword v21, off, s[0:3], 0 offset:2576 ; 4-byte Folded Reload
	buffer_load_dword v22, off, s[0:3], 0 offset:2580 ; 4-byte Folded Reload
	buffer_load_dword v23, off, s[0:3], 0 offset:2584 ; 4-byte Folded Reload
	buffer_load_dword v24, off, s[0:3], 0 offset:2588 ; 4-byte Folded Reload
	buffer_load_dword v25, off, s[0:3], 0 offset:2592 ; 4-byte Folded Reload
	buffer_load_dword v26, off, s[0:3], 0 offset:2596 ; 4-byte Folded Reload
	buffer_load_dword v27, off, s[0:3], 0 offset:2600 ; 4-byte Folded Reload
	buffer_load_dword v28, off, s[0:3], 0 offset:2604 ; 4-byte Folded Reload
	buffer_load_dword v29, off, s[0:3], 0 offset:2608 ; 4-byte Folded Reload
	buffer_load_dword v30, off, s[0:3], 0 offset:2612 ; 4-byte Folded Reload
	buffer_load_dword v31, off, s[0:3], 0 offset:2616 ; 4-byte Folded Reload
	buffer_load_dword v32, off, s[0:3], 0 offset:2620 ; 4-byte Folded Reload
	buffer_load_dword v33, off, s[0:3], 0 offset:2624 ; 4-byte Folded Reload
	buffer_load_dword v34, off, s[0:3], 0 offset:2628 ; 4-byte Folded Reload
	buffer_load_dword v35, off, s[0:3], 0 offset:2632 ; 4-byte Folded Reload
	buffer_load_dword v36, off, s[0:3], 0 offset:2636 ; 4-byte Folded Reload
	buffer_load_dword v37, off, s[0:3], 0 offset:2640 ; 4-byte Folded Reload
	buffer_load_dword v38, off, s[0:3], 0 offset:2644 ; 4-byte Folded Reload
	buffer_load_dword v39, off, s[0:3], 0 offset:2648 ; 4-byte Folded Reload
	buffer_load_dword v40, off, s[0:3], 0 offset:2652 ; 4-byte Folded Reload
	buffer_load_dword v41, off, s[0:3], 0 offset:2656 ; 4-byte Folded Reload
	buffer_load_dword v42, off, s[0:3], 0 offset:2660 ; 4-byte Folded Reload
	buffer_load_dword v43, off, s[0:3], 0 offset:2664 ; 4-byte Folded Reload
	buffer_load_dword v44, off, s[0:3], 0 offset:2668 ; 4-byte Folded Reload
	buffer_load_dword v45, off, s[0:3], 0 offset:2672 ; 4-byte Folded Reload
	v_cndmask_b32_e64 v12, v12, v57, s[34:35]
	s_waitcnt vmcnt(18)
	v_mov_b32_e32 v61, v27
	buffer_load_dword v20, off, s[0:3], 0 offset:2420 ; 4-byte Folded Reload
	buffer_load_dword v21, off, s[0:3], 0 offset:2424 ; 4-byte Folded Reload
	buffer_load_dword v22, off, s[0:3], 0 offset:2428 ; 4-byte Folded Reload
	buffer_load_dword v23, off, s[0:3], 0 offset:2432 ; 4-byte Folded Reload
	buffer_load_dword v24, off, s[0:3], 0 offset:2436 ; 4-byte Folded Reload
	buffer_load_dword v25, off, s[0:3], 0 offset:2440 ; 4-byte Folded Reload
	buffer_load_dword v26, off, s[0:3], 0 offset:2444 ; 4-byte Folded Reload
	buffer_load_dword v27, off, s[0:3], 0 offset:2448 ; 4-byte Folded Reload
	buffer_load_dword v28, off, s[0:3], 0 offset:2452 ; 4-byte Folded Reload
	buffer_load_dword v29, off, s[0:3], 0 offset:2456 ; 4-byte Folded Reload
	buffer_load_dword v30, off, s[0:3], 0 offset:2460 ; 4-byte Folded Reload
	buffer_load_dword v31, off, s[0:3], 0 offset:2464 ; 4-byte Folded Reload
	buffer_load_dword v32, off, s[0:3], 0 offset:2468 ; 4-byte Folded Reload
	buffer_load_dword v33, off, s[0:3], 0 offset:2472 ; 4-byte Folded Reload
	buffer_load_dword v34, off, s[0:3], 0 offset:2476 ; 4-byte Folded Reload
	buffer_load_dword v35, off, s[0:3], 0 offset:2480 ; 4-byte Folded Reload
	buffer_load_dword v36, off, s[0:3], 0 offset:2484 ; 4-byte Folded Reload
	buffer_load_dword v37, off, s[0:3], 0 offset:2488 ; 4-byte Folded Reload
	buffer_load_dword v38, off, s[0:3], 0 offset:2492 ; 4-byte Folded Reload
	buffer_load_dword v39, off, s[0:3], 0 offset:2496 ; 4-byte Folded Reload
	buffer_load_dword v40, off, s[0:3], 0 offset:2500 ; 4-byte Folded Reload
	buffer_load_dword v41, off, s[0:3], 0 offset:2504 ; 4-byte Folded Reload
	buffer_load_dword v42, off, s[0:3], 0 offset:2508 ; 4-byte Folded Reload
	buffer_load_dword v43, off, s[0:3], 0 offset:2512 ; 4-byte Folded Reload
	buffer_load_dword v44, off, s[0:3], 0 offset:2516 ; 4-byte Folded Reload
	buffer_load_dword v45, off, s[0:3], 0 offset:2520 ; 4-byte Folded Reload
	buffer_load_dword v46, off, s[0:3], 0 offset:2524 ; 4-byte Folded Reload
	buffer_load_dword v47, off, s[0:3], 0 offset:2528 ; 4-byte Folded Reload
	buffer_load_dword v48, off, s[0:3], 0 offset:2532 ; 4-byte Folded Reload
	buffer_load_dword v49, off, s[0:3], 0 offset:2536 ; 4-byte Folded Reload
	buffer_load_dword v50, off, s[0:3], 0 offset:2540 ; 4-byte Folded Reload
	buffer_load_dword v51, off, s[0:3], 0 offset:2544 ; 4-byte Folded Reload
	v_cndmask_b32_e64 v12, v12, v61, s[36:37]
	;; [unrolled: 35-line block ×5, first 2 shown]
	s_waitcnt vmcnt(17)
	v_cndmask_b32_e64 v34, v13, v38, s[38:39]
	buffer_load_dword v2, off, s[0:3], 0 offset:2292 ; 4-byte Folded Reload
	buffer_load_dword v3, off, s[0:3], 0 offset:2296 ; 4-byte Folded Reload
	;; [unrolled: 1-line block ×32, first 2 shown]
	s_waitcnt vmcnt(0)
	v_mov_b32_e32 v33, v19
	v_cndmask_b32_e64 v37, v0, v33, s[42:43]
	buffer_load_dword v0, off, s[0:3], 0 offset:2804 ; 4-byte Folded Reload
	buffer_load_dword v1, off, s[0:3], 0 offset:2808 ; 4-byte Folded Reload
	buffer_load_dword v2, off, s[0:3], 0 offset:2812 ; 4-byte Folded Reload
	buffer_load_dword v3, off, s[0:3], 0 offset:2816 ; 4-byte Folded Reload
	buffer_load_dword v4, off, s[0:3], 0 offset:2820 ; 4-byte Folded Reload
	buffer_load_dword v5, off, s[0:3], 0 offset:2824 ; 4-byte Folded Reload
	buffer_load_dword v6, off, s[0:3], 0 offset:2828 ; 4-byte Folded Reload
	buffer_load_dword v7, off, s[0:3], 0 offset:2832 ; 4-byte Folded Reload
	buffer_load_dword v8, off, s[0:3], 0 offset:2836 ; 4-byte Folded Reload
	buffer_load_dword v9, off, s[0:3], 0 offset:2840 ; 4-byte Folded Reload
	buffer_load_dword v10, off, s[0:3], 0 offset:2844 ; 4-byte Folded Reload
	buffer_load_dword v11, off, s[0:3], 0 offset:2848 ; 4-byte Folded Reload
	buffer_load_dword v12, off, s[0:3], 0 offset:2852 ; 4-byte Folded Reload
	buffer_load_dword v13, off, s[0:3], 0 offset:2856 ; 4-byte Folded Reload
	buffer_load_dword v14, off, s[0:3], 0 offset:2860 ; 4-byte Folded Reload
	buffer_load_dword v15, off, s[0:3], 0 offset:2864 ; 4-byte Folded Reload
	buffer_load_dword v16, off, s[0:3], 0 offset:2868 ; 4-byte Folded Reload
	buffer_load_dword v17, off, s[0:3], 0 offset:2872 ; 4-byte Folded Reload
	buffer_load_dword v18, off, s[0:3], 0 offset:2876 ; 4-byte Folded Reload
	buffer_load_dword v19, off, s[0:3], 0 offset:2880 ; 4-byte Folded Reload
	buffer_load_dword v20, off, s[0:3], 0 offset:2884 ; 4-byte Folded Reload
	buffer_load_dword v21, off, s[0:3], 0 offset:2888 ; 4-byte Folded Reload
	buffer_load_dword v22, off, s[0:3], 0 offset:2892 ; 4-byte Folded Reload
	buffer_load_dword v23, off, s[0:3], 0 offset:2896 ; 4-byte Folded Reload
	buffer_load_dword v24, off, s[0:3], 0 offset:2900 ; 4-byte Folded Reload
	buffer_load_dword v25, off, s[0:3], 0 offset:2904 ; 4-byte Folded Reload
	buffer_load_dword v26, off, s[0:3], 0 offset:2908 ; 4-byte Folded Reload
	buffer_load_dword v27, off, s[0:3], 0 offset:2912 ; 4-byte Folded Reload
	buffer_load_dword v28, off, s[0:3], 0 offset:2916 ; 4-byte Folded Reload
	buffer_load_dword v29, off, s[0:3], 0 offset:2920 ; 4-byte Folded Reload
	buffer_load_dword v30, off, s[0:3], 0 offset:2924 ; 4-byte Folded Reload
	buffer_load_dword v31, off, s[0:3], 0 offset:2928 ; 4-byte Folded Reload
	s_waitcnt vmcnt(14)
	v_cndmask_b32_e64 v17, v111, v103, s[8:9]
	s_waitcnt vmcnt(7)
	v_cndmask_b32_e64 v24, v110, v102, s[8:9]
	v_cndmask_b32_e64 v17, v17, v109, s[10:11]
	;; [unrolled: 1-line block ×13, first 2 shown]
	s_waitcnt vmcnt(6)
	v_cndmask_b32_e64 v25, v17, v33, s[22:23]
	v_cndmask_b32_e64 v12, v107, v81, s[24:25]
	;; [unrolled: 1-line block ×9, first 2 shown]
	v_mul_f64 v[86:87], v[24:25], v[96:97]
	v_fmac_f64_e32 v[86:87], v[36:37], v[84:85]
	v_cndmask_b32_e64 v0, v16, v86, s[44:45]
	buffer_store_dword v0, off, s[0:3], 0 offset:112 ; 4-byte Folded Spill
	v_cndmask_b32_e64 v0, v38, v86, s[46:47]
	buffer_store_dword v0, off, s[0:3], 0 offset:2932 ; 4-byte Folded Spill
	v_cndmask_b32_e64 v130, v56, v86, s[48:49]
	v_cndmask_b32_e64 v129, v33, v87, s[44:45]
	;; [unrolled: 1-line block ×3, first 2 shown]
	buffer_load_dword v26, off, s[0:3], 0 offset:244 ; 4-byte Folded Reload
	buffer_load_dword v27, off, s[0:3], 0 offset:248 ; 4-byte Folded Reload
	;; [unrolled: 1-line block ×32, first 2 shown]
	v_cndmask_b32_e64 v131, v60, v86, s[50:51]
	v_cndmask_b32_e64 v128, v63, v87, s[46:47]
	;; [unrolled: 1-line block ×5, first 2 shown]
	buffer_load_dword v36, off, s[0:3], 0 offset:1652 ; 4-byte Folded Reload
	buffer_load_dword v37, off, s[0:3], 0 offset:1656 ; 4-byte Folded Reload
	;; [unrolled: 1-line block ×32, first 2 shown]
	s_waitcnt vmcnt(60)
	v_cndmask_b32_e64 v29, v106, v80, s[8:9]
	v_cndmask_b32_e64 v29, v29, v78, s[10:11]
	;; [unrolled: 1-line block ×3, first 2 shown]
	v_cndmask_b32_e32 v92, v116, v86, vcc
	v_cndmask_b32_e32 v93, v117, v87, vcc
	s_waitcnt vmcnt(54)
	v_cndmask_b32_e64 v12, v12, v35, s[30:31]
	v_cndmask_b32_e64 v13, v13, v34, s[30:31]
	;; [unrolled: 1-line block ×3, first 2 shown]
	s_waitcnt vmcnt(20)
	v_mov_b32_e32 v11, v47
	buffer_load_dword v36, off, s[0:3], 0 offset:1524 ; 4-byte Folded Reload
	buffer_load_dword v37, off, s[0:3], 0 offset:1528 ; 4-byte Folded Reload
	buffer_load_dword v38, off, s[0:3], 0 offset:1532 ; 4-byte Folded Reload
	buffer_load_dword v39, off, s[0:3], 0 offset:1536 ; 4-byte Folded Reload
	buffer_load_dword v40, off, s[0:3], 0 offset:1540 ; 4-byte Folded Reload
	buffer_load_dword v41, off, s[0:3], 0 offset:1544 ; 4-byte Folded Reload
	buffer_load_dword v42, off, s[0:3], 0 offset:1548 ; 4-byte Folded Reload
	buffer_load_dword v43, off, s[0:3], 0 offset:1552 ; 4-byte Folded Reload
	buffer_load_dword v44, off, s[0:3], 0 offset:1556 ; 4-byte Folded Reload
	buffer_load_dword v45, off, s[0:3], 0 offset:1560 ; 4-byte Folded Reload
	buffer_load_dword v46, off, s[0:3], 0 offset:1564 ; 4-byte Folded Reload
	buffer_load_dword v47, off, s[0:3], 0 offset:1568 ; 4-byte Folded Reload
	buffer_load_dword v48, off, s[0:3], 0 offset:1572 ; 4-byte Folded Reload
	buffer_load_dword v49, off, s[0:3], 0 offset:1576 ; 4-byte Folded Reload
	buffer_load_dword v50, off, s[0:3], 0 offset:1580 ; 4-byte Folded Reload
	buffer_load_dword v51, off, s[0:3], 0 offset:1584 ; 4-byte Folded Reload
	buffer_load_dword v52, off, s[0:3], 0 offset:1588 ; 4-byte Folded Reload
	buffer_load_dword v53, off, s[0:3], 0 offset:1592 ; 4-byte Folded Reload
	buffer_load_dword v54, off, s[0:3], 0 offset:1596 ; 4-byte Folded Reload
	buffer_load_dword v55, off, s[0:3], 0 offset:1600 ; 4-byte Folded Reload
	buffer_load_dword v56, off, s[0:3], 0 offset:1604 ; 4-byte Folded Reload
	buffer_load_dword v57, off, s[0:3], 0 offset:1608 ; 4-byte Folded Reload
	buffer_load_dword v58, off, s[0:3], 0 offset:1612 ; 4-byte Folded Reload
	buffer_load_dword v59, off, s[0:3], 0 offset:1616 ; 4-byte Folded Reload
	buffer_load_dword v60, off, s[0:3], 0 offset:1620 ; 4-byte Folded Reload
	buffer_load_dword v61, off, s[0:3], 0 offset:1624 ; 4-byte Folded Reload
	buffer_load_dword v62, off, s[0:3], 0 offset:1628 ; 4-byte Folded Reload
	buffer_load_dword v63, off, s[0:3], 0 offset:1632 ; 4-byte Folded Reload
	buffer_load_dword v64, off, s[0:3], 0 offset:1636 ; 4-byte Folded Reload
	buffer_load_dword v65, off, s[0:3], 0 offset:1640 ; 4-byte Folded Reload
	buffer_load_dword v66, off, s[0:3], 0 offset:1644 ; 4-byte Folded Reload
	buffer_load_dword v67, off, s[0:3], 0 offset:1648 ; 4-byte Folded Reload
	v_cndmask_b32_e64 v12, v12, v11, s[34:35]
	s_waitcnt vmcnt(18)
	v_mov_b32_e32 v21, v49
	buffer_load_dword v36, off, s[0:3], 0 offset:1396 ; 4-byte Folded Reload
	buffer_load_dword v37, off, s[0:3], 0 offset:1400 ; 4-byte Folded Reload
	buffer_load_dword v38, off, s[0:3], 0 offset:1404 ; 4-byte Folded Reload
	buffer_load_dword v39, off, s[0:3], 0 offset:1408 ; 4-byte Folded Reload
	buffer_load_dword v40, off, s[0:3], 0 offset:1412 ; 4-byte Folded Reload
	buffer_load_dword v41, off, s[0:3], 0 offset:1416 ; 4-byte Folded Reload
	buffer_load_dword v42, off, s[0:3], 0 offset:1420 ; 4-byte Folded Reload
	buffer_load_dword v43, off, s[0:3], 0 offset:1424 ; 4-byte Folded Reload
	buffer_load_dword v44, off, s[0:3], 0 offset:1428 ; 4-byte Folded Reload
	buffer_load_dword v45, off, s[0:3], 0 offset:1432 ; 4-byte Folded Reload
	buffer_load_dword v46, off, s[0:3], 0 offset:1436 ; 4-byte Folded Reload
	buffer_load_dword v47, off, s[0:3], 0 offset:1440 ; 4-byte Folded Reload
	buffer_load_dword v48, off, s[0:3], 0 offset:1444 ; 4-byte Folded Reload
	buffer_load_dword v49, off, s[0:3], 0 offset:1448 ; 4-byte Folded Reload
	buffer_load_dword v50, off, s[0:3], 0 offset:1452 ; 4-byte Folded Reload
	buffer_load_dword v51, off, s[0:3], 0 offset:1456 ; 4-byte Folded Reload
	buffer_load_dword v52, off, s[0:3], 0 offset:1460 ; 4-byte Folded Reload
	buffer_load_dword v53, off, s[0:3], 0 offset:1464 ; 4-byte Folded Reload
	buffer_load_dword v54, off, s[0:3], 0 offset:1468 ; 4-byte Folded Reload
	buffer_load_dword v55, off, s[0:3], 0 offset:1472 ; 4-byte Folded Reload
	buffer_load_dword v56, off, s[0:3], 0 offset:1476 ; 4-byte Folded Reload
	buffer_load_dword v57, off, s[0:3], 0 offset:1480 ; 4-byte Folded Reload
	buffer_load_dword v58, off, s[0:3], 0 offset:1484 ; 4-byte Folded Reload
	buffer_load_dword v59, off, s[0:3], 0 offset:1488 ; 4-byte Folded Reload
	buffer_load_dword v60, off, s[0:3], 0 offset:1492 ; 4-byte Folded Reload
	buffer_load_dword v61, off, s[0:3], 0 offset:1496 ; 4-byte Folded Reload
	buffer_load_dword v62, off, s[0:3], 0 offset:1500 ; 4-byte Folded Reload
	buffer_load_dword v63, off, s[0:3], 0 offset:1504 ; 4-byte Folded Reload
	buffer_load_dword v64, off, s[0:3], 0 offset:1508 ; 4-byte Folded Reload
	buffer_load_dword v65, off, s[0:3], 0 offset:1512 ; 4-byte Folded Reload
	buffer_load_dword v66, off, s[0:3], 0 offset:1516 ; 4-byte Folded Reload
	buffer_load_dword v67, off, s[0:3], 0 offset:1520 ; 4-byte Folded Reload
	v_cndmask_b32_e64 v12, v12, v21, s[36:37]
	;; [unrolled: 35-line block ×4, first 2 shown]
	v_cndmask_b32_e64 v29, v29, v10, s[16:17]
	s_waitcnt vmcnt(19)
	v_mov_b32_e32 v18, v48
	buffer_load_dword v36, off, s[0:3], 0 offset:1908 ; 4-byte Folded Reload
	buffer_load_dword v37, off, s[0:3], 0 offset:1912 ; 4-byte Folded Reload
	buffer_load_dword v38, off, s[0:3], 0 offset:1916 ; 4-byte Folded Reload
	buffer_load_dword v39, off, s[0:3], 0 offset:1920 ; 4-byte Folded Reload
	buffer_load_dword v40, off, s[0:3], 0 offset:1924 ; 4-byte Folded Reload
	buffer_load_dword v41, off, s[0:3], 0 offset:1928 ; 4-byte Folded Reload
	buffer_load_dword v42, off, s[0:3], 0 offset:1932 ; 4-byte Folded Reload
	buffer_load_dword v43, off, s[0:3], 0 offset:1936 ; 4-byte Folded Reload
	buffer_load_dword v44, off, s[0:3], 0 offset:1940 ; 4-byte Folded Reload
	buffer_load_dword v45, off, s[0:3], 0 offset:1944 ; 4-byte Folded Reload
	buffer_load_dword v46, off, s[0:3], 0 offset:1948 ; 4-byte Folded Reload
	buffer_load_dword v47, off, s[0:3], 0 offset:1952 ; 4-byte Folded Reload
	buffer_load_dword v48, off, s[0:3], 0 offset:1956 ; 4-byte Folded Reload
	buffer_load_dword v49, off, s[0:3], 0 offset:1960 ; 4-byte Folded Reload
	buffer_load_dword v50, off, s[0:3], 0 offset:1964 ; 4-byte Folded Reload
	buffer_load_dword v51, off, s[0:3], 0 offset:1968 ; 4-byte Folded Reload
	buffer_load_dword v52, off, s[0:3], 0 offset:1972 ; 4-byte Folded Reload
	buffer_load_dword v53, off, s[0:3], 0 offset:1976 ; 4-byte Folded Reload
	buffer_load_dword v54, off, s[0:3], 0 offset:1980 ; 4-byte Folded Reload
	buffer_load_dword v55, off, s[0:3], 0 offset:1984 ; 4-byte Folded Reload
	buffer_load_dword v56, off, s[0:3], 0 offset:1988 ; 4-byte Folded Reload
	buffer_load_dword v57, off, s[0:3], 0 offset:1992 ; 4-byte Folded Reload
	buffer_load_dword v58, off, s[0:3], 0 offset:1996 ; 4-byte Folded Reload
	buffer_load_dword v59, off, s[0:3], 0 offset:2000 ; 4-byte Folded Reload
	buffer_load_dword v60, off, s[0:3], 0 offset:2004 ; 4-byte Folded Reload
	buffer_load_dword v61, off, s[0:3], 0 offset:2008 ; 4-byte Folded Reload
	buffer_load_dword v62, off, s[0:3], 0 offset:2012 ; 4-byte Folded Reload
	buffer_load_dword v63, off, s[0:3], 0 offset:2016 ; 4-byte Folded Reload
	buffer_load_dword v64, off, s[0:3], 0 offset:2020 ; 4-byte Folded Reload
	buffer_load_dword v65, off, s[0:3], 0 offset:2024 ; 4-byte Folded Reload
	buffer_load_dword v66, off, s[0:3], 0 offset:2028 ; 4-byte Folded Reload
	buffer_load_dword v67, off, s[0:3], 0 offset:2032 ; 4-byte Folded Reload
	v_cndmask_b32_e64 v13, v13, v18, s[36:37]
	v_cndmask_b32_e64 v29, v29, v18, s[18:19]
	s_waitcnt vmcnt(17)
	v_mov_b32_e32 v14, v50
	buffer_load_dword v36, off, s[0:3], 0 offset:1268 ; 4-byte Folded Reload
	buffer_load_dword v37, off, s[0:3], 0 offset:1272 ; 4-byte Folded Reload
	buffer_load_dword v38, off, s[0:3], 0 offset:1276 ; 4-byte Folded Reload
	buffer_load_dword v39, off, s[0:3], 0 offset:1280 ; 4-byte Folded Reload
	buffer_load_dword v40, off, s[0:3], 0 offset:1284 ; 4-byte Folded Reload
	buffer_load_dword v41, off, s[0:3], 0 offset:1288 ; 4-byte Folded Reload
	buffer_load_dword v42, off, s[0:3], 0 offset:1292 ; 4-byte Folded Reload
	buffer_load_dword v43, off, s[0:3], 0 offset:1296 ; 4-byte Folded Reload
	buffer_load_dword v44, off, s[0:3], 0 offset:1300 ; 4-byte Folded Reload
	buffer_load_dword v45, off, s[0:3], 0 offset:1304 ; 4-byte Folded Reload
	buffer_load_dword v46, off, s[0:3], 0 offset:1308 ; 4-byte Folded Reload
	buffer_load_dword v47, off, s[0:3], 0 offset:1312 ; 4-byte Folded Reload
	buffer_load_dword v48, off, s[0:3], 0 offset:1316 ; 4-byte Folded Reload
	buffer_load_dword v49, off, s[0:3], 0 offset:1320 ; 4-byte Folded Reload
	buffer_load_dword v50, off, s[0:3], 0 offset:1324 ; 4-byte Folded Reload
	buffer_load_dword v51, off, s[0:3], 0 offset:1328 ; 4-byte Folded Reload
	buffer_load_dword v52, off, s[0:3], 0 offset:1332 ; 4-byte Folded Reload
	buffer_load_dword v53, off, s[0:3], 0 offset:1336 ; 4-byte Folded Reload
	buffer_load_dword v54, off, s[0:3], 0 offset:1340 ; 4-byte Folded Reload
	buffer_load_dword v55, off, s[0:3], 0 offset:1344 ; 4-byte Folded Reload
	buffer_load_dword v56, off, s[0:3], 0 offset:1348 ; 4-byte Folded Reload
	buffer_load_dword v57, off, s[0:3], 0 offset:1352 ; 4-byte Folded Reload
	buffer_load_dword v58, off, s[0:3], 0 offset:1356 ; 4-byte Folded Reload
	buffer_load_dword v59, off, s[0:3], 0 offset:1360 ; 4-byte Folded Reload
	buffer_load_dword v60, off, s[0:3], 0 offset:1364 ; 4-byte Folded Reload
	buffer_load_dword v61, off, s[0:3], 0 offset:1368 ; 4-byte Folded Reload
	buffer_load_dword v62, off, s[0:3], 0 offset:1372 ; 4-byte Folded Reload
	buffer_load_dword v63, off, s[0:3], 0 offset:1376 ; 4-byte Folded Reload
	buffer_load_dword v64, off, s[0:3], 0 offset:1380 ; 4-byte Folded Reload
	buffer_load_dword v65, off, s[0:3], 0 offset:1384 ; 4-byte Folded Reload
	buffer_load_dword v66, off, s[0:3], 0 offset:1388 ; 4-byte Folded Reload
	buffer_load_dword v67, off, s[0:3], 0 offset:1392 ; 4-byte Folded Reload
	v_cndmask_b32_e64 v17, v13, v14, s[38:39]
	;; [unrolled: 36-line block ×3, first 2 shown]
	s_waitcnt vmcnt(15)
	v_mov_b32_e32 v16, v52
	v_cndmask_b32_e64 v12, v17, v16, s[42:43]
	v_cndmask_b32_e64 v17, v107, v81, s[8:9]
	;; [unrolled: 1-line block ×10, first 2 shown]
	v_mul_f64 v[116:117], v[44:45], v[96:97]
	v_fmac_f64_e32 v[116:117], v[12:13], v[84:85]
	v_cndmask_b32_e64 v147, v16, v116, s[44:45]
	v_cndmask_b32_e64 v146, v14, v116, s[46:47]
	;; [unrolled: 1-line block ×6, first 2 shown]
	v_cndmask_b32_e32 v127, v34, v116, vcc
	v_cndmask_b32_e32 v114, v35, v117, vcc
	buffer_load_dword v14, off, s[0:3], 0 offset:756 ; 4-byte Folded Reload
	buffer_load_dword v15, off, s[0:3], 0 offset:760 ; 4-byte Folded Reload
	;; [unrolled: 1-line block ×32, first 2 shown]
	v_cndmask_b32_e64 v12, v153, v137, s[24:25]
	v_cndmask_b32_e64 v13, v152, v136, s[24:25]
	;; [unrolled: 1-line block ×11, first 2 shown]
	v_cmp_eq_u32_e64 s[24:25], 1, v124
	v_cmp_eq_u32_e64 s[26:27], 0, v124
	v_cndmask_b32_e64 v103, v103, v87, s[24:25]
	v_cndmask_b32_e64 v104, v111, v87, s[26:27]
	v_cmp_eq_u32_e64 s[30:31], 1, v126
	v_cndmask_b32_e64 v115, v120, v116, s[40:41]
	v_cndmask_b32_e64 v120, v121, v117, s[40:41]
	;; [unrolled: 1-line block ×3, first 2 shown]
	s_waitcnt vmcnt(20)
	v_mov_b32_e32 v99, v25
	buffer_load_dword v14, off, s[0:3], 0 offset:628 ; 4-byte Folded Reload
	buffer_load_dword v15, off, s[0:3], 0 offset:632 ; 4-byte Folded Reload
	;; [unrolled: 1-line block ×64, first 2 shown]
	v_cndmask_b32_e64 v12, v12, v99, s[34:35]
	s_waitcnt vmcnt(50)
	v_mov_b32_e32 v91, v27
	buffer_load_dword v14, off, s[0:3], 0 offset:1140 ; 4-byte Folded Reload
	buffer_load_dword v15, off, s[0:3], 0 offset:1144 ; 4-byte Folded Reload
	buffer_load_dword v16, off, s[0:3], 0 offset:1148 ; 4-byte Folded Reload
	buffer_load_dword v17, off, s[0:3], 0 offset:1152 ; 4-byte Folded Reload
	buffer_load_dword v18, off, s[0:3], 0 offset:1156 ; 4-byte Folded Reload
	buffer_load_dword v19, off, s[0:3], 0 offset:1160 ; 4-byte Folded Reload
	buffer_load_dword v20, off, s[0:3], 0 offset:1164 ; 4-byte Folded Reload
	buffer_load_dword v21, off, s[0:3], 0 offset:1168 ; 4-byte Folded Reload
	buffer_load_dword v22, off, s[0:3], 0 offset:1172 ; 4-byte Folded Reload
	buffer_load_dword v23, off, s[0:3], 0 offset:1176 ; 4-byte Folded Reload
	buffer_load_dword v24, off, s[0:3], 0 offset:1180 ; 4-byte Folded Reload
	buffer_load_dword v25, off, s[0:3], 0 offset:1184 ; 4-byte Folded Reload
	buffer_load_dword v26, off, s[0:3], 0 offset:1188 ; 4-byte Folded Reload
	buffer_load_dword v27, off, s[0:3], 0 offset:1192 ; 4-byte Folded Reload
	buffer_load_dword v28, off, s[0:3], 0 offset:1196 ; 4-byte Folded Reload
	buffer_load_dword v29, off, s[0:3], 0 offset:1200 ; 4-byte Folded Reload
	buffer_load_dword v30, off, s[0:3], 0 offset:1204 ; 4-byte Folded Reload
	buffer_load_dword v31, off, s[0:3], 0 offset:1208 ; 4-byte Folded Reload
	buffer_load_dword v32, off, s[0:3], 0 offset:1212 ; 4-byte Folded Reload
	buffer_load_dword v33, off, s[0:3], 0 offset:1216 ; 4-byte Folded Reload
	buffer_load_dword v34, off, s[0:3], 0 offset:1220 ; 4-byte Folded Reload
	buffer_load_dword v35, off, s[0:3], 0 offset:1224 ; 4-byte Folded Reload
	buffer_load_dword v36, off, s[0:3], 0 offset:1228 ; 4-byte Folded Reload
	buffer_load_dword v37, off, s[0:3], 0 offset:1232 ; 4-byte Folded Reload
	buffer_load_dword v38, off, s[0:3], 0 offset:1236 ; 4-byte Folded Reload
	buffer_load_dword v39, off, s[0:3], 0 offset:1240 ; 4-byte Folded Reload
	buffer_load_dword v40, off, s[0:3], 0 offset:1244 ; 4-byte Folded Reload
	buffer_load_dword v41, off, s[0:3], 0 offset:1248 ; 4-byte Folded Reload
	buffer_load_dword v42, off, s[0:3], 0 offset:1252 ; 4-byte Folded Reload
	buffer_load_dword v43, off, s[0:3], 0 offset:1256 ; 4-byte Folded Reload
	buffer_load_dword v44, off, s[0:3], 0 offset:1260 ; 4-byte Folded Reload
	buffer_load_dword v45, off, s[0:3], 0 offset:1264 ; 4-byte Folded Reload
	s_waitcnt vmcnt(44)
	v_mov_b32_e32 v63, v59
	buffer_load_dword v30, off, s[0:3], 0 offset:1012 ; 4-byte Folded Reload
	buffer_load_dword v31, off, s[0:3], 0 offset:1016 ; 4-byte Folded Reload
	;; [unrolled: 1-line block ×32, first 2 shown]
	v_cndmask_b32_e64 v12, v12, v91, s[36:37]
	v_cndmask_b32_e64 v0, v12, v63, s[38:39]
	s_waitcnt vmcnt(51)
	v_mov_b32_e32 v62, v26
	v_cndmask_b32_e64 v13, v13, v62, s[36:37]
	s_waitcnt vmcnt(17)
	v_cndmask_b32_e64 v43, v13, v44, s[38:39]
	buffer_load_dword v10, off, s[0:3], 0 offset:372 ; 4-byte Folded Reload
	buffer_load_dword v11, off, s[0:3], 0 offset:376 ; 4-byte Folded Reload
	;; [unrolled: 1-line block ×32, first 2 shown]
	v_cmp_eq_u32_e64 s[36:37], 2, v126
	v_cmp_eq_u32_e64 s[38:39], 3, v126
	s_waitcnt vmcnt(8)
	v_mov_b32_e32 v33, v27
	s_waitcnt vmcnt(6)
	v_cndmask_b32_e64 v35, v0, v33, s[42:43]
	buffer_load_dword v0, off, s[0:3], 0 offset:884 ; 4-byte Folded Reload
	buffer_load_dword v1, off, s[0:3], 0 offset:888 ; 4-byte Folded Reload
	;; [unrolled: 1-line block ×32, first 2 shown]
	s_waitcnt vmcnt(14)
	v_cndmask_b32_e64 v17, v153, v137, s[8:9]
	s_waitcnt vmcnt(2)
	v_cndmask_b32_e64 v29, v152, v136, s[8:9]
	v_cndmask_b32_e64 v17, v17, v159, s[10:11]
	;; [unrolled: 1-line block ×14, first 2 shown]
	v_mul_f64 v[12:13], v[76:77], v[96:97]
	v_fmac_f64_e32 v[12:13], v[82:83], v[84:85]
	s_mov_b32 s8, 0x3fd00
	v_cndmask_b32_e64 v65, v98, v12, s[44:45]
	v_cndmask_b32_e64 v77, v80, v116, s[24:25]
	;; [unrolled: 1-line block ×5, first 2 shown]
	v_cmp_eq_u32_e64 s[10:11], 2, v90
	v_cndmask_b32_e64 v82, v101, v13, s[40:41]
	v_cmp_eq_u32_e64 s[12:13], 3, v90
	v_cndmask_b32_e32 v83, v135, v13, vcc
	v_cmp_eq_u32_e64 s[14:15], 4, v90
	v_cmp_eq_u32_e64 s[16:17], 5, v90
	;; [unrolled: 1-line block ×4, first 2 shown]
	v_cndmask_b32_e64 v75, v100, v12, s[40:41]
	v_cndmask_b32_e64 v54, v29, v16, s[22:23]
	;; [unrolled: 1-line block ×3, first 2 shown]
	v_mul_f64 v[88:89], v[54:55], v[96:97]
	v_fmac_f64_e32 v[88:89], v[34:35], v[84:85]
	v_cndmask_b32_e64 v57, v16, v88, s[44:45]
	v_cndmask_b32_e64 v56, v44, v88, s[46:47]
	;; [unrolled: 1-line block ×3, first 2 shown]
	buffer_load_dword v14, off, s[0:3], 0 offset:3956 ; 4-byte Folded Reload
	buffer_load_dword v15, off, s[0:3], 0 offset:3960 ; 4-byte Folded Reload
	;; [unrolled: 1-line block ×32, first 2 shown]
	v_cndmask_b32_e64 v60, v63, v89, s[46:47]
	v_cndmask_b32_e64 v55, v62, v88, s[48:49]
	v_cndmask_b32_e64 v58, v99, v89, s[50:51]
	v_cndmask_b32_e64 v97, v102, v86, s[24:25]
	v_cndmask_b32_e64 v99, v110, v86, s[26:27]
	v_cmp_eq_u32_e64 s[22:23], 8, v90
	v_cndmask_b32_e64 v4, v118, v88, s[40:41]
	v_cndmask_b32_e64 v5, v119, v89, s[40:41]
	v_cmp_eq_u32_e64 s[40:41], 4, v126
	v_cmp_eq_u32_e64 s[42:43], 5, v126
	v_cndmask_b32_e64 v59, v91, v89, s[48:49]
	v_cndmask_b32_e32 v72, v122, v88, vcc
	v_cndmask_b32_e32 v73, v123, v89, vcc
	v_cndmask_b32_e64 v54, v112, v88, s[50:51]
	v_cndmask_b32_e64 v84, v152, v88, s[26:27]
	;; [unrolled: 1-line block ×3, first 2 shown]
	s_waitcnt vmcnt(17)
	v_cndmask_b32_e64 v64, v28, v12, s[46:47]
	buffer_load_dword v14, off, s[0:3], s8  ; 4-byte Folded Reload
	buffer_load_dword v15, off, s[0:3], s8 offset:4 ; 4-byte Folded Reload
	buffer_load_dword v16, off, s[0:3], s8 offset:8 ; 4-byte Folded Reload
	;; [unrolled: 1-line block ×31, first 2 shown]
	s_mov_b32 s8, 0x41d00
	s_waitcnt vmcnt(19)
	v_cndmask_b32_e64 v63, v26, v12, s[48:49]
	buffer_load_dword v14, off, s[0:3], s8  ; 4-byte Folded Reload
	buffer_load_dword v15, off, s[0:3], s8 offset:4 ; 4-byte Folded Reload
	buffer_load_dword v16, off, s[0:3], s8 offset:8 ; 4-byte Folded Reload
	;; [unrolled: 1-line block ×31, first 2 shown]
	v_cmp_eq_u32_e64 s[8:9], 2, v124
	v_cndmask_b32_e64 v96, v108, v86, s[8:9]
	v_cndmask_b32_e64 v102, v109, v87, s[8:9]
	;; [unrolled: 1-line block ×9, first 2 shown]
	v_cmp_eq_u32_e64 s[8:9], 1, v90
	v_cndmask_b32_e64 v0, v79, v80, s[8:9]
	v_cndmask_b32_e64 v0, v0, v81, s[10:11]
	;; [unrolled: 1-line block ×4, first 2 shown]
	v_cndmask_b32_e32 v78, v134, v12, vcc
	s_waitcnt vmcnt(21)
	v_cndmask_b32_e64 v62, v24, v12, s[50:51]
	buffer_load_dword v14, off, s[0:3], 0 offset:3316 ; 4-byte Folded Reload
	buffer_load_dword v15, off, s[0:3], 0 offset:3320 ; 4-byte Folded Reload
	;; [unrolled: 1-line block ×32, first 2 shown]
	s_waitcnt vmcnt(14)
	v_cndmask_b32_e64 v69, v31, v13, s[44:45]
	buffer_load_dword v14, off, s[0:3], 0 offset:3572 ; 4-byte Folded Reload
	buffer_load_dword v15, off, s[0:3], 0 offset:3576 ; 4-byte Folded Reload
	;; [unrolled: 1-line block ×32, first 2 shown]
	v_cmp_eq_u32_e64 s[44:45], 6, v126
	s_waitcnt vmcnt(16)
	v_cndmask_b32_e64 v68, v29, v13, s[46:47]
	buffer_load_dword v14, off, s[0:3], 0 offset:3700 ; 4-byte Folded Reload
	buffer_load_dword v15, off, s[0:3], 0 offset:3704 ; 4-byte Folded Reload
	;; [unrolled: 1-line block ×32, first 2 shown]
	v_cmp_eq_u32_e64 s[46:47], 7, v126
	s_waitcnt vmcnt(18)
	v_cndmask_b32_e64 v67, v27, v13, s[48:49]
	buffer_load_dword v14, off, s[0:3], 0 offset:3828 ; 4-byte Folded Reload
	buffer_load_dword v15, off, s[0:3], 0 offset:3832 ; 4-byte Folded Reload
	;; [unrolled: 1-line block ×32, first 2 shown]
	s_waitcnt vmcnt(28)
	v_mov_b32_e32 v17, 16
	s_waitcnt vmcnt(27)
	v_lshl_add_u32 v18, v124, 2, v17
	buffer_load_dword v29, v18, s[0:3], 0 offen
	buffer_load_dword v3, off, s[0:3], 0 offset:2932 ; 4-byte Folded Reload
	buffer_load_dword v2, off, s[0:3], 0 offset:112 ; 4-byte Folded Reload
	s_waitcnt vmcnt(24)
	v_cndmask_b32_e64 v24, v162, v12, s[26:27]
	v_cmp_eq_u32_e64 s[48:49], 8, v126
	s_waitcnt vmcnt(14)
	v_cndmask_b32_e64 v34, v136, v88, s[24:25]
	s_waitcnt vmcnt(13)
	v_cndmask_b32_e64 v35, v137, v89, s[24:25]
	v_cndmask_b32_e64 v66, v25, v13, s[50:51]
	;; [unrolled: 1-line block ×4, first 2 shown]
	s_waitcnt vmcnt(2)
	v_lshl_add_u32 v17, v29, 2, v17
	buffer_load_dword v98, v17, s[0:3], 0 offen
	v_cndmask_b32_e64 v25, v160, v12, s[24:25]
	v_cndmask_b32_e64 v0, v0, v68, s[20:21]
	;; [unrolled: 1-line block ×27, first 2 shown]
	v_add_f64 v[16:17], -v[12:13], 0
	v_add_f64 v[20:21], v[18:19], -v[12:13]
	v_div_scale_f64 v[22:23], s[28:29], v[20:21], v[20:21], v[16:17]
	v_rcp_f64_e32 v[90:91], v[22:23]
	v_cmp_eq_u32_e64 s[24:25], 3, v29
	v_fma_f64 v[0:1], -v[22:23], v[90:91], 1.0
	v_fmac_f64_e32 v[90:91], v[90:91], v[0:1]
	v_fma_f64 v[0:1], -v[22:23], v[90:91], 1.0
	v_fmac_f64_e32 v[90:91], v[90:91], v[0:1]
	v_div_scale_f64 v[0:1], vcc, v[16:17], v[20:21], v[16:17]
	v_mul_f64 v[88:89], v[0:1], v[90:91]
	v_fma_f64 v[0:1], -v[22:23], v[88:89], v[0:1]
	s_waitcnt vmcnt(0)
	buffer_store_dword v98, off, s[0:3], 0 offset:108
	v_div_fmas_f64 v[0:1], v[0:1], v[90:91], v[88:89]
	v_div_fixup_f64 v[0:1], v[0:1], v[20:21], v[16:17]
	v_cndmask_b32_e64 v16, v104, v103, s[30:31]
	v_cndmask_b32_e64 v16, v16, v102, s[36:37]
	;; [unrolled: 1-line block ×32, first 2 shown]
	v_add_f64 v[20:21], -v[0:1], 1.0
	v_mul_f64 v[16:17], v[16:17], v[20:21]
	v_fmac_f64_e32 v[16:17], v[22:23], v[0:1]
	v_cmp_eq_u32_e32 vcc, 4, v29
	v_cndmask_b32_e64 v23, v95, v17, s[24:25]
	v_cndmask_b32_e64 v22, v94, v16, s[24:25]
	v_cndmask_b32_e32 v117, v93, v17, vcc
	v_cndmask_b32_e32 v116, v92, v16, vcc
	buffer_store_dword v16, off, s[0:3], 0 offset:116 ; 4-byte Folded Spill
	s_nop 0
	buffer_store_dword v17, off, s[0:3], 0 offset:120 ; 4-byte Folded Spill
	buffer_store_dword v18, off, s[0:3], 0 offset:124 ; 4-byte Folded Spill
	;; [unrolled: 1-line block ×31, first 2 shown]
	v_cndmask_b32_e64 v22, v107, v106, s[30:31]
	v_cndmask_b32_e64 v22, v22, v105, s[36:37]
	;; [unrolled: 1-line block ×39, first 2 shown]
	v_mul_f64 v[22:23], v[22:23], v[20:21]
	v_cndmask_b32_e64 v91, v90, v61, s[22:23]
	v_cndmask_b32_e64 v90, v84, v34, s[8:9]
	v_fmac_f64_e32 v[22:23], v[88:89], v[0:1]
	v_cndmask_b32_e64 v88, v100, v35, s[30:31]
	v_cndmask_b32_e64 v90, v90, v85, s[10:11]
	;; [unrolled: 1-line block ×16, first 2 shown]
	v_mul_f64 v[90:91], v[90:91], v[20:21]
	v_mul_f64 v[20:21], v[12:13], v[20:21]
	v_cmp_eq_u32_e64 s[26:27], 2, v29
	v_cmp_eq_u32_e64 s[28:29], 1, v29
	;; [unrolled: 1-line block ×3, first 2 shown]
	v_cndmask_b32_e64 v88, v88, v85, s[36:37]
	v_fmac_f64_e32 v[20:21], v[18:19], v[0:1]
	v_cndmask_b32_e32 v13, v114, v23, vcc
	v_cndmask_b32_e32 v12, v127, v22, vcc
	v_cndmask_b32_e64 v109, v102, v17, s[26:27]
	v_cndmask_b32_e64 v108, v96, v16, s[26:27]
	;; [unrolled: 1-line block ×7, first 2 shown]
	buffer_store_dword v4, off, s[0:3], 0 offset:244 ; 4-byte Folded Spill
	s_nop 0
	buffer_store_dword v5, off, s[0:3], 0 offset:248 ; 4-byte Folded Spill
	buffer_store_dword v6, off, s[0:3], 0 offset:252 ; 4-byte Folded Spill
	;; [unrolled: 1-line block ×31, first 2 shown]
	v_cndmask_b32_e64 v88, v88, v72, s[40:41]
	v_cndmask_b32_e64 v88, v88, v54, s[42:43]
	;; [unrolled: 1-line block ×5, first 2 shown]
	v_fmac_f64_e32 v[90:91], v[88:89], v[0:1]
	v_mov_b32_e32 v12, v124
	v_cndmask_b32_e32 v123, v73, v91, vcc
	v_cndmask_b32_e32 v122, v72, v90, vcc
	v_cndmask_b32_e64 v153, v100, v91, s[34:35]
	v_mov_b32_e32 v0, -1
	v_cndmask_b32_e64 v159, v87, v91, s[26:27]
	v_cndmask_b32_e64 v158, v85, v90, s[26:27]
	;; [unrolled: 1-line block ×3, first 2 shown]
	v_cmp_eq_u32_e64 s[12:13], 8, v29
	v_cndmask_b32_e64 v19, v129, v17, s[12:13]
	v_cndmask_b32_e64 v121, v120, v23, s[24:25]
	v_cndmask_b32_e64 v120, v115, v22, s[24:25]
	v_cndmask_b32_e64 v89, v105, v23, s[26:27]
	v_cndmask_b32_e64 v88, v86, v22, s[26:27]
	v_cndmask_b32_e64 v105, v106, v23, s[28:29]
	v_cndmask_b32_e64 v104, v77, v22, s[28:29]
	v_cndmask_b32_e64 v107, v107, v23, s[34:35]
	v_cndmask_b32_e64 v106, v76, v22, s[34:35]
	v_cndmask_b32_e64 v119, v5, v91, s[24:25]
	v_cndmask_b32_e64 v118, v4, v90, s[24:25]
	v_cndmask_b32_e32 v135, v83, v21, vcc
	v_cndmask_b32_e32 v134, v78, v20, vcc
	v_cndmask_b32_e64 v101, v82, v21, s[24:25]
	v_cndmask_b32_e64 v100, v75, v20, s[24:25]
	;; [unrolled: 1-line block ×8, first 2 shown]
	v_cmp_eq_u32_e32 vcc, 7, v29
	v_cmp_eq_u32_e64 s[8:9], 6, v29
	v_cmp_eq_u32_e64 s[10:11], 5, v29
	buffer_store_dword v2, off, s[0:3], 0 offset:2292 ; 4-byte Folded Spill
	s_nop 0
	buffer_store_dword v3, off, s[0:3], 0 offset:2296 ; 4-byte Folded Spill
	buffer_store_dword v4, off, s[0:3], 0 offset:2300 ; 4-byte Folded Spill
	buffer_store_dword v5, off, s[0:3], 0 offset:2304 ; 4-byte Folded Spill
	buffer_store_dword v6, off, s[0:3], 0 offset:2308 ; 4-byte Folded Spill
	buffer_store_dword v7, off, s[0:3], 0 offset:2312 ; 4-byte Folded Spill
	buffer_store_dword v8, off, s[0:3], 0 offset:2316 ; 4-byte Folded Spill
	buffer_store_dword v9, off, s[0:3], 0 offset:2320 ; 4-byte Folded Spill
	buffer_store_dword v10, off, s[0:3], 0 offset:2324 ; 4-byte Folded Spill
	buffer_store_dword v11, off, s[0:3], 0 offset:2328 ; 4-byte Folded Spill
	buffer_store_dword v12, off, s[0:3], 0 offset:2332 ; 4-byte Folded Spill
	buffer_store_dword v13, off, s[0:3], 0 offset:2336 ; 4-byte Folded Spill
	buffer_store_dword v14, off, s[0:3], 0 offset:2340 ; 4-byte Folded Spill
	buffer_store_dword v15, off, s[0:3], 0 offset:2344 ; 4-byte Folded Spill
	buffer_store_dword v16, off, s[0:3], 0 offset:2348 ; 4-byte Folded Spill
	buffer_store_dword v17, off, s[0:3], 0 offset:2352 ; 4-byte Folded Spill
	buffer_store_dword v18, off, s[0:3], 0 offset:2356 ; 4-byte Folded Spill
	buffer_store_dword v19, off, s[0:3], 0 offset:2360 ; 4-byte Folded Spill
	buffer_store_dword v20, off, s[0:3], 0 offset:2364 ; 4-byte Folded Spill
	buffer_store_dword v21, off, s[0:3], 0 offset:2368 ; 4-byte Folded Spill
	buffer_store_dword v22, off, s[0:3], 0 offset:2372 ; 4-byte Folded Spill
	buffer_store_dword v23, off, s[0:3], 0 offset:2376 ; 4-byte Folded Spill
	buffer_store_dword v24, off, s[0:3], 0 offset:2380 ; 4-byte Folded Spill
	buffer_store_dword v25, off, s[0:3], 0 offset:2384 ; 4-byte Folded Spill
	buffer_store_dword v26, off, s[0:3], 0 offset:2388 ; 4-byte Folded Spill
	buffer_store_dword v27, off, s[0:3], 0 offset:2392 ; 4-byte Folded Spill
	buffer_store_dword v28, off, s[0:3], 0 offset:2396 ; 4-byte Folded Spill
	buffer_store_dword v29, off, s[0:3], 0 offset:2400 ; 4-byte Folded Spill
	buffer_store_dword v30, off, s[0:3], 0 offset:2404 ; 4-byte Folded Spill
	buffer_store_dword v31, off, s[0:3], 0 offset:2408 ; 4-byte Folded Spill
	buffer_store_dword v32, off, s[0:3], 0 offset:2412 ; 4-byte Folded Spill
	buffer_store_dword v33, off, s[0:3], 0 offset:2416 ; 4-byte Folded Spill
	v_pk_mov_b32 v[114:115], v[88:89], v[88:89] op_sel:[0,1]
	v_cndmask_b32_e64 v137, v35, v91, s[28:29]
	v_cndmask_b32_e64 v136, v34, v90, s[28:29]
	;; [unrolled: 1-line block ×4, first 2 shown]
	buffer_store_dword v2, off, s[0:3], 0 offset:2804 ; 4-byte Folded Spill
	s_nop 0
	buffer_store_dword v3, off, s[0:3], 0 offset:2808 ; 4-byte Folded Spill
	buffer_store_dword v4, off, s[0:3], 0 offset:2812 ; 4-byte Folded Spill
	;; [unrolled: 1-line block ×31, first 2 shown]
	v_cndmask_b32_e32 v15, v128, v17, vcc
	buffer_store_dword v0, off, s[0:3], 0 offset:2420 ; 4-byte Folded Spill
	s_nop 0
	buffer_store_dword v1, off, s[0:3], 0 offset:2424 ; 4-byte Folded Spill
	buffer_store_dword v2, off, s[0:3], 0 offset:2428 ; 4-byte Folded Spill
	;; [unrolled: 1-line block ×31, first 2 shown]
	v_cndmask_b32_e32 v14, v3, v16, vcc
	buffer_store_dword v0, off, s[0:3], 0 offset:2932 ; 4-byte Folded Spill
	s_nop 0
	buffer_store_dword v1, off, s[0:3], 0 offset:2936 ; 4-byte Folded Spill
	buffer_store_dword v2, off, s[0:3], 0 offset:2940 ; 4-byte Folded Spill
	buffer_store_dword v3, off, s[0:3], 0 offset:2944 ; 4-byte Folded Spill
	buffer_store_dword v4, off, s[0:3], 0 offset:2948 ; 4-byte Folded Spill
	buffer_store_dword v5, off, s[0:3], 0 offset:2952 ; 4-byte Folded Spill
	buffer_store_dword v6, off, s[0:3], 0 offset:2956 ; 4-byte Folded Spill
	buffer_store_dword v7, off, s[0:3], 0 offset:2960 ; 4-byte Folded Spill
	buffer_store_dword v8, off, s[0:3], 0 offset:2964 ; 4-byte Folded Spill
	buffer_store_dword v9, off, s[0:3], 0 offset:2968 ; 4-byte Folded Spill
	buffer_store_dword v10, off, s[0:3], 0 offset:2972 ; 4-byte Folded Spill
	buffer_store_dword v11, off, s[0:3], 0 offset:2976 ; 4-byte Folded Spill
	buffer_store_dword v12, off, s[0:3], 0 offset:2980 ; 4-byte Folded Spill
	buffer_store_dword v13, off, s[0:3], 0 offset:2984 ; 4-byte Folded Spill
	buffer_store_dword v14, off, s[0:3], 0 offset:2988 ; 4-byte Folded Spill
	buffer_store_dword v15, off, s[0:3], 0 offset:2992 ; 4-byte Folded Spill
	buffer_store_dword v16, off, s[0:3], 0 offset:2996 ; 4-byte Folded Spill
	buffer_store_dword v17, off, s[0:3], 0 offset:3000 ; 4-byte Folded Spill
	buffer_store_dword v18, off, s[0:3], 0 offset:3004 ; 4-byte Folded Spill
	buffer_store_dword v19, off, s[0:3], 0 offset:3008 ; 4-byte Folded Spill
	buffer_store_dword v20, off, s[0:3], 0 offset:3012 ; 4-byte Folded Spill
	buffer_store_dword v21, off, s[0:3], 0 offset:3016 ; 4-byte Folded Spill
	buffer_store_dword v22, off, s[0:3], 0 offset:3020 ; 4-byte Folded Spill
	buffer_store_dword v23, off, s[0:3], 0 offset:3024 ; 4-byte Folded Spill
	buffer_store_dword v24, off, s[0:3], 0 offset:3028 ; 4-byte Folded Spill
	buffer_store_dword v25, off, s[0:3], 0 offset:3032 ; 4-byte Folded Spill
	buffer_store_dword v26, off, s[0:3], 0 offset:3036 ; 4-byte Folded Spill
	buffer_store_dword v27, off, s[0:3], 0 offset:3040 ; 4-byte Folded Spill
	buffer_store_dword v28, off, s[0:3], 0 offset:3044 ; 4-byte Folded Spill
	buffer_store_dword v29, off, s[0:3], 0 offset:3048 ; 4-byte Folded Spill
	buffer_store_dword v30, off, s[0:3], 0 offset:3052 ; 4-byte Folded Spill
	buffer_store_dword v31, off, s[0:3], 0 offset:3056 ; 4-byte Folded Spill
	v_cndmask_b32_e64 v13, v133, v17, s[8:9]
	buffer_store_dword v0, off, s[0:3], 0 offset:2548 ; 4-byte Folded Spill
	s_nop 0
	buffer_store_dword v1, off, s[0:3], 0 offset:2552 ; 4-byte Folded Spill
	buffer_store_dword v2, off, s[0:3], 0 offset:2556 ; 4-byte Folded Spill
	buffer_store_dword v3, off, s[0:3], 0 offset:2560 ; 4-byte Folded Spill
	buffer_store_dword v4, off, s[0:3], 0 offset:2564 ; 4-byte Folded Spill
	buffer_store_dword v5, off, s[0:3], 0 offset:2568 ; 4-byte Folded Spill
	buffer_store_dword v6, off, s[0:3], 0 offset:2572 ; 4-byte Folded Spill
	buffer_store_dword v7, off, s[0:3], 0 offset:2576 ; 4-byte Folded Spill
	buffer_store_dword v8, off, s[0:3], 0 offset:2580 ; 4-byte Folded Spill
	buffer_store_dword v9, off, s[0:3], 0 offset:2584 ; 4-byte Folded Spill
	buffer_store_dword v10, off, s[0:3], 0 offset:2588 ; 4-byte Folded Spill
	buffer_store_dword v11, off, s[0:3], 0 offset:2592 ; 4-byte Folded Spill
	buffer_store_dword v12, off, s[0:3], 0 offset:2596 ; 4-byte Folded Spill
	buffer_store_dword v13, off, s[0:3], 0 offset:2600 ; 4-byte Folded Spill
	buffer_store_dword v14, off, s[0:3], 0 offset:2604 ; 4-byte Folded Spill
	buffer_store_dword v15, off, s[0:3], 0 offset:2608 ; 4-byte Folded Spill
	buffer_store_dword v16, off, s[0:3], 0 offset:2612 ; 4-byte Folded Spill
	buffer_store_dword v17, off, s[0:3], 0 offset:2616 ; 4-byte Folded Spill
	buffer_store_dword v18, off, s[0:3], 0 offset:2620 ; 4-byte Folded Spill
	buffer_store_dword v19, off, s[0:3], 0 offset:2624 ; 4-byte Folded Spill
	buffer_store_dword v20, off, s[0:3], 0 offset:2628 ; 4-byte Folded Spill
	buffer_store_dword v21, off, s[0:3], 0 offset:2632 ; 4-byte Folded Spill
	buffer_store_dword v22, off, s[0:3], 0 offset:2636 ; 4-byte Folded Spill
	buffer_store_dword v23, off, s[0:3], 0 offset:2640 ; 4-byte Folded Spill
	buffer_store_dword v24, off, s[0:3], 0 offset:2644 ; 4-byte Folded Spill
	buffer_store_dword v25, off, s[0:3], 0 offset:2648 ; 4-byte Folded Spill
	buffer_store_dword v26, off, s[0:3], 0 offset:2652 ; 4-byte Folded Spill
	buffer_store_dword v27, off, s[0:3], 0 offset:2656 ; 4-byte Folded Spill
	buffer_store_dword v28, off, s[0:3], 0 offset:2660 ; 4-byte Folded Spill
	buffer_store_dword v29, off, s[0:3], 0 offset:2664 ; 4-byte Folded Spill
	buffer_store_dword v30, off, s[0:3], 0 offset:2668 ; 4-byte Folded Spill
	buffer_store_dword v31, off, s[0:3], 0 offset:2672 ; 4-byte Folded Spill
	v_cndmask_b32_e64 v14, v130, v16, s[8:9]
	;; [unrolled: 34-line block ×6, first 2 shown]
	buffer_store_dword v0, off, s[0:3], 0 offset:1780 ; 4-byte Folded Spill
	s_nop 0
	buffer_store_dword v1, off, s[0:3], 0 offset:1784 ; 4-byte Folded Spill
	buffer_store_dword v2, off, s[0:3], 0 offset:1788 ; 4-byte Folded Spill
	;; [unrolled: 1-line block ×31, first 2 shown]
	v_cndmask_b32_e32 v15, v150, v23, vcc
	buffer_store_dword v0, off, s[0:3], 0 offset:1396 ; 4-byte Folded Spill
	s_nop 0
	buffer_store_dword v1, off, s[0:3], 0 offset:1400 ; 4-byte Folded Spill
	buffer_store_dword v2, off, s[0:3], 0 offset:1404 ; 4-byte Folded Spill
	;; [unrolled: 1-line block ×31, first 2 shown]
	v_cndmask_b32_e32 v14, v146, v22, vcc
	buffer_store_dword v0, off, s[0:3], 0 offset:1908 ; 4-byte Folded Spill
	s_nop 0
	buffer_store_dword v1, off, s[0:3], 0 offset:1912 ; 4-byte Folded Spill
	buffer_store_dword v2, off, s[0:3], 0 offset:1916 ; 4-byte Folded Spill
	buffer_store_dword v3, off, s[0:3], 0 offset:1920 ; 4-byte Folded Spill
	buffer_store_dword v4, off, s[0:3], 0 offset:1924 ; 4-byte Folded Spill
	buffer_store_dword v5, off, s[0:3], 0 offset:1928 ; 4-byte Folded Spill
	buffer_store_dword v6, off, s[0:3], 0 offset:1932 ; 4-byte Folded Spill
	buffer_store_dword v7, off, s[0:3], 0 offset:1936 ; 4-byte Folded Spill
	buffer_store_dword v8, off, s[0:3], 0 offset:1940 ; 4-byte Folded Spill
	buffer_store_dword v9, off, s[0:3], 0 offset:1944 ; 4-byte Folded Spill
	buffer_store_dword v10, off, s[0:3], 0 offset:1948 ; 4-byte Folded Spill
	buffer_store_dword v11, off, s[0:3], 0 offset:1952 ; 4-byte Folded Spill
	buffer_store_dword v12, off, s[0:3], 0 offset:1956 ; 4-byte Folded Spill
	buffer_store_dword v13, off, s[0:3], 0 offset:1960 ; 4-byte Folded Spill
	buffer_store_dword v14, off, s[0:3], 0 offset:1964 ; 4-byte Folded Spill
	buffer_store_dword v15, off, s[0:3], 0 offset:1968 ; 4-byte Folded Spill
	buffer_store_dword v16, off, s[0:3], 0 offset:1972 ; 4-byte Folded Spill
	buffer_store_dword v17, off, s[0:3], 0 offset:1976 ; 4-byte Folded Spill
	buffer_store_dword v18, off, s[0:3], 0 offset:1980 ; 4-byte Folded Spill
	buffer_store_dword v19, off, s[0:3], 0 offset:1984 ; 4-byte Folded Spill
	buffer_store_dword v20, off, s[0:3], 0 offset:1988 ; 4-byte Folded Spill
	buffer_store_dword v21, off, s[0:3], 0 offset:1992 ; 4-byte Folded Spill
	buffer_store_dword v22, off, s[0:3], 0 offset:1996 ; 4-byte Folded Spill
	buffer_store_dword v23, off, s[0:3], 0 offset:2000 ; 4-byte Folded Spill
	buffer_store_dword v24, off, s[0:3], 0 offset:2004 ; 4-byte Folded Spill
	buffer_store_dword v25, off, s[0:3], 0 offset:2008 ; 4-byte Folded Spill
	buffer_store_dword v26, off, s[0:3], 0 offset:2012 ; 4-byte Folded Spill
	buffer_store_dword v27, off, s[0:3], 0 offset:2016 ; 4-byte Folded Spill
	buffer_store_dword v28, off, s[0:3], 0 offset:2020 ; 4-byte Folded Spill
	buffer_store_dword v29, off, s[0:3], 0 offset:2024 ; 4-byte Folded Spill
	buffer_store_dword v30, off, s[0:3], 0 offset:2028 ; 4-byte Folded Spill
	buffer_store_dword v31, off, s[0:3], 0 offset:2032 ; 4-byte Folded Spill
	v_cndmask_b32_e64 v13, v149, v23, s[8:9]
	buffer_store_dword v0, off, s[0:3], 0 offset:1524 ; 4-byte Folded Spill
	s_nop 0
	buffer_store_dword v1, off, s[0:3], 0 offset:1528 ; 4-byte Folded Spill
	buffer_store_dword v2, off, s[0:3], 0 offset:1532 ; 4-byte Folded Spill
	buffer_store_dword v3, off, s[0:3], 0 offset:1536 ; 4-byte Folded Spill
	buffer_store_dword v4, off, s[0:3], 0 offset:1540 ; 4-byte Folded Spill
	buffer_store_dword v5, off, s[0:3], 0 offset:1544 ; 4-byte Folded Spill
	buffer_store_dword v6, off, s[0:3], 0 offset:1548 ; 4-byte Folded Spill
	buffer_store_dword v7, off, s[0:3], 0 offset:1552 ; 4-byte Folded Spill
	buffer_store_dword v8, off, s[0:3], 0 offset:1556 ; 4-byte Folded Spill
	buffer_store_dword v9, off, s[0:3], 0 offset:1560 ; 4-byte Folded Spill
	buffer_store_dword v10, off, s[0:3], 0 offset:1564 ; 4-byte Folded Spill
	buffer_store_dword v11, off, s[0:3], 0 offset:1568 ; 4-byte Folded Spill
	buffer_store_dword v12, off, s[0:3], 0 offset:1572 ; 4-byte Folded Spill
	buffer_store_dword v13, off, s[0:3], 0 offset:1576 ; 4-byte Folded Spill
	buffer_store_dword v14, off, s[0:3], 0 offset:1580 ; 4-byte Folded Spill
	buffer_store_dword v15, off, s[0:3], 0 offset:1584 ; 4-byte Folded Spill
	buffer_store_dword v16, off, s[0:3], 0 offset:1588 ; 4-byte Folded Spill
	buffer_store_dword v17, off, s[0:3], 0 offset:1592 ; 4-byte Folded Spill
	buffer_store_dword v18, off, s[0:3], 0 offset:1596 ; 4-byte Folded Spill
	buffer_store_dword v19, off, s[0:3], 0 offset:1600 ; 4-byte Folded Spill
	buffer_store_dword v20, off, s[0:3], 0 offset:1604 ; 4-byte Folded Spill
	buffer_store_dword v21, off, s[0:3], 0 offset:1608 ; 4-byte Folded Spill
	buffer_store_dword v22, off, s[0:3], 0 offset:1612 ; 4-byte Folded Spill
	buffer_store_dword v23, off, s[0:3], 0 offset:1616 ; 4-byte Folded Spill
	buffer_store_dword v24, off, s[0:3], 0 offset:1620 ; 4-byte Folded Spill
	buffer_store_dword v25, off, s[0:3], 0 offset:1624 ; 4-byte Folded Spill
	buffer_store_dword v26, off, s[0:3], 0 offset:1628 ; 4-byte Folded Spill
	buffer_store_dword v27, off, s[0:3], 0 offset:1632 ; 4-byte Folded Spill
	buffer_store_dword v28, off, s[0:3], 0 offset:1636 ; 4-byte Folded Spill
	buffer_store_dword v29, off, s[0:3], 0 offset:1640 ; 4-byte Folded Spill
	buffer_store_dword v30, off, s[0:3], 0 offset:1644 ; 4-byte Folded Spill
	buffer_store_dword v31, off, s[0:3], 0 offset:1648 ; 4-byte Folded Spill
	v_cndmask_b32_e64 v14, v145, v22, s[8:9]
	;; [unrolled: 34-line block ×6, first 2 shown]
	buffer_store_dword v0, off, s[0:3], 0 offset:884 ; 4-byte Folded Spill
	s_nop 0
	buffer_store_dword v1, off, s[0:3], 0 offset:888 ; 4-byte Folded Spill
	buffer_store_dword v2, off, s[0:3], 0 offset:892 ; 4-byte Folded Spill
	;; [unrolled: 1-line block ×31, first 2 shown]
	v_cndmask_b32_e32 v15, v60, v91, vcc
	buffer_store_dword v0, off, s[0:3], 0 offset:500 ; 4-byte Folded Spill
	s_nop 0
	buffer_store_dword v1, off, s[0:3], 0 offset:504 ; 4-byte Folded Spill
	buffer_store_dword v2, off, s[0:3], 0 offset:508 ; 4-byte Folded Spill
	buffer_store_dword v3, off, s[0:3], 0 offset:512 ; 4-byte Folded Spill
	buffer_store_dword v4, off, s[0:3], 0 offset:516 ; 4-byte Folded Spill
	buffer_store_dword v5, off, s[0:3], 0 offset:520 ; 4-byte Folded Spill
	buffer_store_dword v6, off, s[0:3], 0 offset:524 ; 4-byte Folded Spill
	buffer_store_dword v7, off, s[0:3], 0 offset:528 ; 4-byte Folded Spill
	buffer_store_dword v8, off, s[0:3], 0 offset:532 ; 4-byte Folded Spill
	buffer_store_dword v9, off, s[0:3], 0 offset:536 ; 4-byte Folded Spill
	buffer_store_dword v10, off, s[0:3], 0 offset:540 ; 4-byte Folded Spill
	buffer_store_dword v11, off, s[0:3], 0 offset:544 ; 4-byte Folded Spill
	buffer_store_dword v12, off, s[0:3], 0 offset:548 ; 4-byte Folded Spill
	buffer_store_dword v13, off, s[0:3], 0 offset:552 ; 4-byte Folded Spill
	buffer_store_dword v14, off, s[0:3], 0 offset:556 ; 4-byte Folded Spill
	buffer_store_dword v15, off, s[0:3], 0 offset:560 ; 4-byte Folded Spill
	buffer_store_dword v16, off, s[0:3], 0 offset:564 ; 4-byte Folded Spill
	buffer_store_dword v17, off, s[0:3], 0 offset:568 ; 4-byte Folded Spill
	buffer_store_dword v18, off, s[0:3], 0 offset:572 ; 4-byte Folded Spill
	buffer_store_dword v19, off, s[0:3], 0 offset:576 ; 4-byte Folded Spill
	buffer_store_dword v20, off, s[0:3], 0 offset:580 ; 4-byte Folded Spill
	buffer_store_dword v21, off, s[0:3], 0 offset:584 ; 4-byte Folded Spill
	buffer_store_dword v22, off, s[0:3], 0 offset:588 ; 4-byte Folded Spill
	buffer_store_dword v23, off, s[0:3], 0 offset:592 ; 4-byte Folded Spill
	buffer_store_dword v24, off, s[0:3], 0 offset:596 ; 4-byte Folded Spill
	buffer_store_dword v25, off, s[0:3], 0 offset:600 ; 4-byte Folded Spill
	buffer_store_dword v26, off, s[0:3], 0 offset:604 ; 4-byte Folded Spill
	buffer_store_dword v27, off, s[0:3], 0 offset:608 ; 4-byte Folded Spill
	buffer_store_dword v28, off, s[0:3], 0 offset:612 ; 4-byte Folded Spill
	buffer_store_dword v29, off, s[0:3], 0 offset:616 ; 4-byte Folded Spill
	buffer_store_dword v30, off, s[0:3], 0 offset:620 ; 4-byte Folded Spill
	buffer_store_dword v31, off, s[0:3], 0 offset:624 ; 4-byte Folded Spill
	v_cndmask_b32_e32 v14, v56, v90, vcc
	buffer_store_dword v0, off, s[0:3], 0 offset:1012 ; 4-byte Folded Spill
	s_nop 0
	buffer_store_dword v1, off, s[0:3], 0 offset:1016 ; 4-byte Folded Spill
	buffer_store_dword v2, off, s[0:3], 0 offset:1020 ; 4-byte Folded Spill
	buffer_store_dword v3, off, s[0:3], 0 offset:1024 ; 4-byte Folded Spill
	buffer_store_dword v4, off, s[0:3], 0 offset:1028 ; 4-byte Folded Spill
	buffer_store_dword v5, off, s[0:3], 0 offset:1032 ; 4-byte Folded Spill
	buffer_store_dword v6, off, s[0:3], 0 offset:1036 ; 4-byte Folded Spill
	buffer_store_dword v7, off, s[0:3], 0 offset:1040 ; 4-byte Folded Spill
	buffer_store_dword v8, off, s[0:3], 0 offset:1044 ; 4-byte Folded Spill
	buffer_store_dword v9, off, s[0:3], 0 offset:1048 ; 4-byte Folded Spill
	buffer_store_dword v10, off, s[0:3], 0 offset:1052 ; 4-byte Folded Spill
	buffer_store_dword v11, off, s[0:3], 0 offset:1056 ; 4-byte Folded Spill
	buffer_store_dword v12, off, s[0:3], 0 offset:1060 ; 4-byte Folded Spill
	buffer_store_dword v13, off, s[0:3], 0 offset:1064 ; 4-byte Folded Spill
	buffer_store_dword v14, off, s[0:3], 0 offset:1068 ; 4-byte Folded Spill
	buffer_store_dword v15, off, s[0:3], 0 offset:1072 ; 4-byte Folded Spill
	buffer_store_dword v16, off, s[0:3], 0 offset:1076 ; 4-byte Folded Spill
	buffer_store_dword v17, off, s[0:3], 0 offset:1080 ; 4-byte Folded Spill
	buffer_store_dword v18, off, s[0:3], 0 offset:1084 ; 4-byte Folded Spill
	buffer_store_dword v19, off, s[0:3], 0 offset:1088 ; 4-byte Folded Spill
	buffer_store_dword v20, off, s[0:3], 0 offset:1092 ; 4-byte Folded Spill
	buffer_store_dword v21, off, s[0:3], 0 offset:1096 ; 4-byte Folded Spill
	buffer_store_dword v22, off, s[0:3], 0 offset:1100 ; 4-byte Folded Spill
	buffer_store_dword v23, off, s[0:3], 0 offset:1104 ; 4-byte Folded Spill
	buffer_store_dword v24, off, s[0:3], 0 offset:1108 ; 4-byte Folded Spill
	buffer_store_dword v25, off, s[0:3], 0 offset:1112 ; 4-byte Folded Spill
	buffer_store_dword v26, off, s[0:3], 0 offset:1116 ; 4-byte Folded Spill
	buffer_store_dword v27, off, s[0:3], 0 offset:1120 ; 4-byte Folded Spill
	buffer_store_dword v28, off, s[0:3], 0 offset:1124 ; 4-byte Folded Spill
	buffer_store_dword v29, off, s[0:3], 0 offset:1128 ; 4-byte Folded Spill
	buffer_store_dword v30, off, s[0:3], 0 offset:1132 ; 4-byte Folded Spill
	buffer_store_dword v31, off, s[0:3], 0 offset:1136 ; 4-byte Folded Spill
	v_cndmask_b32_e64 v13, v59, v91, s[8:9]
	buffer_store_dword v0, off, s[0:3], 0 offset:628 ; 4-byte Folded Spill
	s_nop 0
	buffer_store_dword v1, off, s[0:3], 0 offset:632 ; 4-byte Folded Spill
	buffer_store_dword v2, off, s[0:3], 0 offset:636 ; 4-byte Folded Spill
	buffer_store_dword v3, off, s[0:3], 0 offset:640 ; 4-byte Folded Spill
	buffer_store_dword v4, off, s[0:3], 0 offset:644 ; 4-byte Folded Spill
	buffer_store_dword v5, off, s[0:3], 0 offset:648 ; 4-byte Folded Spill
	buffer_store_dword v6, off, s[0:3], 0 offset:652 ; 4-byte Folded Spill
	buffer_store_dword v7, off, s[0:3], 0 offset:656 ; 4-byte Folded Spill
	buffer_store_dword v8, off, s[0:3], 0 offset:660 ; 4-byte Folded Spill
	buffer_store_dword v9, off, s[0:3], 0 offset:664 ; 4-byte Folded Spill
	buffer_store_dword v10, off, s[0:3], 0 offset:668 ; 4-byte Folded Spill
	buffer_store_dword v11, off, s[0:3], 0 offset:672 ; 4-byte Folded Spill
	buffer_store_dword v12, off, s[0:3], 0 offset:676 ; 4-byte Folded Spill
	buffer_store_dword v13, off, s[0:3], 0 offset:680 ; 4-byte Folded Spill
	buffer_store_dword v14, off, s[0:3], 0 offset:684 ; 4-byte Folded Spill
	buffer_store_dword v15, off, s[0:3], 0 offset:688 ; 4-byte Folded Spill
	buffer_store_dword v16, off, s[0:3], 0 offset:692 ; 4-byte Folded Spill
	buffer_store_dword v17, off, s[0:3], 0 offset:696 ; 4-byte Folded Spill
	buffer_store_dword v18, off, s[0:3], 0 offset:700 ; 4-byte Folded Spill
	buffer_store_dword v19, off, s[0:3], 0 offset:704 ; 4-byte Folded Spill
	buffer_store_dword v20, off, s[0:3], 0 offset:708 ; 4-byte Folded Spill
	buffer_store_dword v21, off, s[0:3], 0 offset:712 ; 4-byte Folded Spill
	buffer_store_dword v22, off, s[0:3], 0 offset:716 ; 4-byte Folded Spill
	buffer_store_dword v23, off, s[0:3], 0 offset:720 ; 4-byte Folded Spill
	buffer_store_dword v24, off, s[0:3], 0 offset:724 ; 4-byte Folded Spill
	buffer_store_dword v25, off, s[0:3], 0 offset:728 ; 4-byte Folded Spill
	buffer_store_dword v26, off, s[0:3], 0 offset:732 ; 4-byte Folded Spill
	buffer_store_dword v27, off, s[0:3], 0 offset:736 ; 4-byte Folded Spill
	buffer_store_dword v28, off, s[0:3], 0 offset:740 ; 4-byte Folded Spill
	buffer_store_dword v29, off, s[0:3], 0 offset:744 ; 4-byte Folded Spill
	buffer_store_dword v30, off, s[0:3], 0 offset:748 ; 4-byte Folded Spill
	buffer_store_dword v31, off, s[0:3], 0 offset:752 ; 4-byte Folded Spill
	v_cndmask_b32_e64 v14, v55, v90, s[8:9]
	;; [unrolled: 34-line block ×4, first 2 shown]
	v_cndmask_b32_e64 v16, v65, v20, s[12:13]
	v_cndmask_b32_e32 v33, v68, v21, vcc
	v_cndmask_b32_e32 v26, v64, v20, vcc
	v_cndmask_b32_e64 v25, v67, v21, s[8:9]
	v_cndmask_b32_e64 v30, v63, v20, s[8:9]
	;; [unrolled: 1-line block ×4, first 2 shown]
.LBB0_101:
	s_or_b64 exec, exec, s[58:59]
	buffer_store_dword v0, off, s[0:3], 0 offset:104
	s_mov_b64 s[18:19], exec
	s_and_b64 s[4:5], s[18:19], s[4:5]
	v_mov_b32_e32 v20, v16
	s_mov_b64 exec, s[4:5]
	s_cbranch_execz .LBB0_110
; %bb.102:
	s_mov_b64 s[20:21], 0
	v_mov_b32_e32 v13, 16
	s_branch .LBB0_104
.LBB0_103:                              ;   in Loop: Header=BB0_104 Depth=1
	s_or_b64 exec, exec, s[8:9]
	s_waitcnt vmcnt(0)
	v_cmp_gt_i32_e32 vcc, 0, v16
	s_or_b64 s[20:21], vcc, s[20:21]
	v_mov_b32_e32 v113, v16
	s_andn2_b64 exec, exec, s[20:21]
	s_cbranch_execz .LBB0_110
.LBB0_104:                              ; =>This Inner Loop Header: Depth=1
	v_cmp_eq_u32_e32 vcc, 1, v113
	v_cndmask_b32_e32 v16, v163, v161, vcc
	v_cmp_eq_u32_e64 s[4:5], 2, v113
	v_cndmask_b32_e32 v17, v162, v160, vcc
	v_cndmask_b32_e64 v16, v16, v165, s[4:5]
	v_cmp_eq_u32_e64 s[8:9], 3, v113
	v_cndmask_b32_e64 v17, v17, v164, s[4:5]
	v_cndmask_b32_e64 v16, v16, v101, s[8:9]
	v_cmp_eq_u32_e64 s[10:11], 4, v113
	v_cndmask_b32_e64 v17, v17, v100, s[8:9]
	;; [unrolled: 3-line block ×5, first 2 shown]
	v_cndmask_b32_e64 v16, v16, v33, s[16:17]
	v_cndmask_b32_e64 v18, v17, v26, s[16:17]
	v_cmp_eq_u32_e32 vcc, 8, v113
	v_cndmask_b32_e32 v17, v16, v31, vcc
	v_cndmask_b32_e32 v16, v18, v20, vcc
	v_lshl_add_u32 v18, v113, 2, v13
	v_cmp_ngt_f64_e32 vcc, 0, v[16:17]
	buffer_load_dword v16, v18, s[0:3], 0 offen
	s_mov_b64 s[4:5], 0
                                        ; implicit-def: $vgpr17
	s_and_saveexec_b64 s[8:9], vcc
	s_xor_b64 s[8:9], exec, s[8:9]
	s_cbranch_execnz .LBB0_107
; %bb.105:                              ;   in Loop: Header=BB0_104 Depth=1
	s_andn2_saveexec_b64 s[8:9], s[8:9]
	s_cbranch_execnz .LBB0_108
.LBB0_106:                              ;   in Loop: Header=BB0_104 Depth=1
	s_or_b64 exec, exec, s[8:9]
	s_and_saveexec_b64 s[8:9], s[4:5]
	s_cbranch_execz .LBB0_103
	s_branch .LBB0_109
.LBB0_107:                              ;   in Loop: Header=BB0_104 Depth=1
	buffer_load_dword v17, off, s[0:3], 0 offset:104
                                        ; implicit-def: $vgpr18
	s_waitcnt vmcnt(0)
	v_cmp_eq_u32_e32 vcc, -1, v17
	v_mov_b32_e32 v17, 0x68
	s_and_b64 s[4:5], vcc, exec
	s_andn2_saveexec_b64 s[8:9], s[8:9]
	s_cbranch_execz .LBB0_106
.LBB0_108:                              ;   in Loop: Header=BB0_104 Depth=1
	buffer_load_dword v19, off, s[0:3], 0 offset:108
	v_mov_b32_e32 v17, 0x6c
	s_or_b64 s[4:5], s[4:5], exec
	s_waitcnt vmcnt(0)
	buffer_store_dword v19, v18, s[0:3], 0 offen
	s_or_b64 exec, exec, s[8:9]
	s_and_saveexec_b64 s[8:9], s[4:5]
	s_cbranch_execz .LBB0_103
.LBB0_109:                              ;   in Loop: Header=BB0_104 Depth=1
	buffer_store_dword v113, v17, s[0:3], 0 offen
	s_branch .LBB0_103
.LBB0_110:
	s_or_b64 exec, exec, s[18:19]
	s_and_saveexec_b64 s[4:5], s[6:7]
	s_cbranch_execz .LBB0_112
; %bb.111:
	v_max_f64 v[10:11], v[138:139], v[138:139]
	v_max_f64 v[14:15], v[140:141], v[140:141]
	v_mov_b32_e32 v13, 16
	v_min_f64 v[10:11], v[14:15], v[10:11]
	v_lshl_add_u32 v16, v125, 2, v13
	v_cmp_ngt_f64_e32 vcc, 0, v[10:11]
	v_lshl_add_u32 v17, v12, 2, v13
	v_cndmask_b32_e32 v10, -1, v126, vcc
	v_lshl_add_u32 v11, v29, 2, v13
	buffer_store_dword v12, v16, s[0:3], 0 offen
	buffer_store_dword v29, v17, s[0:3], 0 offen
	;; [unrolled: 1-line block ×3, first 2 shown]
.LBB0_112:
	s_or_b64 exec, exec, s[4:5]
	buffer_load_dword v10, off, s[0:3], 0 offset:104
	s_waitcnt vmcnt(0)
	v_cmp_lt_i32_e32 vcc, -1, v10
	s_mov_b64 s[20:21], exec
	s_and_b64 s[4:5], s[20:21], vcc
	v_pk_mov_b32 v[88:89], v[114:115], v[114:115] op_sel:[0,1]
	s_mov_b64 exec, s[4:5]
	s_cbranch_execz .LBB0_116
; %bb.113:
	buffer_load_dword v44, off, s[0:3], 0 offset:116 ; 4-byte Folded Reload
	buffer_load_dword v45, off, s[0:3], 0 offset:120 ; 4-byte Folded Reload
	;; [unrolled: 1-line block ×32, first 2 shown]
	s_mov_b64 s[22:23], 0
	v_mov_b32_e32 v11, 16
	v_mov_b32_e32 v12, v10
	v_pk_mov_b32 v[18:19], v[108:109], v[108:109] op_sel:[0,1]
	v_pk_mov_b32 v[20:21], v[102:103], v[102:103] op_sel:[0,1]
	;; [unrolled: 1-line block ×5, first 2 shown]
	s_waitcnt vmcnt(24)
	v_pk_mov_b32 v[24:25], v[50:51], v[50:51] op_sel:[0,1]
	buffer_load_dword v30, off, s[0:3], 0 offset:244 ; 4-byte Folded Reload
	buffer_load_dword v31, off, s[0:3], 0 offset:248 ; 4-byte Folded Reload
	;; [unrolled: 1-line block ×32, first 2 shown]
	s_waitcnt vmcnt(22)
	v_pk_mov_b32 v[30:31], v[38:39], v[38:39] op_sel:[0,1]
	buffer_load_dword v32, off, s[0:3], 0 offset:372 ; 4-byte Folded Reload
	buffer_load_dword v33, off, s[0:3], 0 offset:376 ; 4-byte Folded Reload
	buffer_load_dword v34, off, s[0:3], 0 offset:380 ; 4-byte Folded Reload
	buffer_load_dword v35, off, s[0:3], 0 offset:384 ; 4-byte Folded Reload
	buffer_load_dword v36, off, s[0:3], 0 offset:388 ; 4-byte Folded Reload
	buffer_load_dword v37, off, s[0:3], 0 offset:392 ; 4-byte Folded Reload
	buffer_load_dword v38, off, s[0:3], 0 offset:396 ; 4-byte Folded Reload
	buffer_load_dword v39, off, s[0:3], 0 offset:400 ; 4-byte Folded Reload
	buffer_load_dword v40, off, s[0:3], 0 offset:404 ; 4-byte Folded Reload
	buffer_load_dword v41, off, s[0:3], 0 offset:408 ; 4-byte Folded Reload
	buffer_load_dword v42, off, s[0:3], 0 offset:412 ; 4-byte Folded Reload
	buffer_load_dword v43, off, s[0:3], 0 offset:416 ; 4-byte Folded Reload
	buffer_load_dword v44, off, s[0:3], 0 offset:420 ; 4-byte Folded Reload
	buffer_load_dword v45, off, s[0:3], 0 offset:424 ; 4-byte Folded Reload
	buffer_load_dword v46, off, s[0:3], 0 offset:428 ; 4-byte Folded Reload
	buffer_load_dword v47, off, s[0:3], 0 offset:432 ; 4-byte Folded Reload
	buffer_load_dword v48, off, s[0:3], 0 offset:436 ; 4-byte Folded Reload
	buffer_load_dword v49, off, s[0:3], 0 offset:440 ; 4-byte Folded Reload
	buffer_load_dword v50, off, s[0:3], 0 offset:444 ; 4-byte Folded Reload
	buffer_load_dword v51, off, s[0:3], 0 offset:448 ; 4-byte Folded Reload
	buffer_load_dword v52, off, s[0:3], 0 offset:452 ; 4-byte Folded Reload
	buffer_load_dword v53, off, s[0:3], 0 offset:456 ; 4-byte Folded Reload
	buffer_load_dword v54, off, s[0:3], 0 offset:460 ; 4-byte Folded Reload
	buffer_load_dword v55, off, s[0:3], 0 offset:464 ; 4-byte Folded Reload
	buffer_load_dword v56, off, s[0:3], 0 offset:468 ; 4-byte Folded Reload
	buffer_load_dword v57, off, s[0:3], 0 offset:472 ; 4-byte Folded Reload
	buffer_load_dword v58, off, s[0:3], 0 offset:476 ; 4-byte Folded Reload
	buffer_load_dword v59, off, s[0:3], 0 offset:480 ; 4-byte Folded Reload
	buffer_load_dword v60, off, s[0:3], 0 offset:484 ; 4-byte Folded Reload
	buffer_load_dword v61, off, s[0:3], 0 offset:488 ; 4-byte Folded Reload
	buffer_load_dword v62, off, s[0:3], 0 offset:492 ; 4-byte Folded Reload
	buffer_load_dword v63, off, s[0:3], 0 offset:496 ; 4-byte Folded Reload
	s_waitcnt vmcnt(14)
	v_mov_b32_e32 v33, v49
	buffer_load_dword v34, off, s[0:3], 0 offset:500 ; 4-byte Folded Reload
	buffer_load_dword v35, off, s[0:3], 0 offset:504 ; 4-byte Folded Reload
	buffer_load_dword v36, off, s[0:3], 0 offset:508 ; 4-byte Folded Reload
	buffer_load_dword v37, off, s[0:3], 0 offset:512 ; 4-byte Folded Reload
	buffer_load_dword v38, off, s[0:3], 0 offset:516 ; 4-byte Folded Reload
	buffer_load_dword v39, off, s[0:3], 0 offset:520 ; 4-byte Folded Reload
	buffer_load_dword v40, off, s[0:3], 0 offset:524 ; 4-byte Folded Reload
	buffer_load_dword v41, off, s[0:3], 0 offset:528 ; 4-byte Folded Reload
	buffer_load_dword v42, off, s[0:3], 0 offset:532 ; 4-byte Folded Reload
	buffer_load_dword v43, off, s[0:3], 0 offset:536 ; 4-byte Folded Reload
	buffer_load_dword v44, off, s[0:3], 0 offset:540 ; 4-byte Folded Reload
	buffer_load_dword v45, off, s[0:3], 0 offset:544 ; 4-byte Folded Reload
	buffer_load_dword v46, off, s[0:3], 0 offset:548 ; 4-byte Folded Reload
	buffer_load_dword v47, off, s[0:3], 0 offset:552 ; 4-byte Folded Reload
	buffer_load_dword v48, off, s[0:3], 0 offset:556 ; 4-byte Folded Reload
	buffer_load_dword v49, off, s[0:3], 0 offset:560 ; 4-byte Folded Reload
	buffer_load_dword v50, off, s[0:3], 0 offset:564 ; 4-byte Folded Reload
	buffer_load_dword v51, off, s[0:3], 0 offset:568 ; 4-byte Folded Reload
	buffer_load_dword v52, off, s[0:3], 0 offset:572 ; 4-byte Folded Reload
	buffer_load_dword v53, off, s[0:3], 0 offset:576 ; 4-byte Folded Reload
	buffer_load_dword v54, off, s[0:3], 0 offset:580 ; 4-byte Folded Reload
	buffer_load_dword v55, off, s[0:3], 0 offset:584 ; 4-byte Folded Reload
	buffer_load_dword v56, off, s[0:3], 0 offset:588 ; 4-byte Folded Reload
	buffer_load_dword v57, off, s[0:3], 0 offset:592 ; 4-byte Folded Reload
	buffer_load_dword v58, off, s[0:3], 0 offset:596 ; 4-byte Folded Reload
	buffer_load_dword v59, off, s[0:3], 0 offset:600 ; 4-byte Folded Reload
	buffer_load_dword v60, off, s[0:3], 0 offset:604 ; 4-byte Folded Reload
	buffer_load_dword v61, off, s[0:3], 0 offset:608 ; 4-byte Folded Reload
	buffer_load_dword v62, off, s[0:3], 0 offset:612 ; 4-byte Folded Reload
	buffer_load_dword v63, off, s[0:3], 0 offset:616 ; 4-byte Folded Reload
	buffer_load_dword v64, off, s[0:3], 0 offset:620 ; 4-byte Folded Reload
	buffer_load_dword v65, off, s[0:3], 0 offset:624 ; 4-byte Folded Reload
	s_waitcnt vmcnt(16)
	v_mov_b32_e32 v35, v49
	;; [unrolled: 34-line block ×23, first 2 shown]
.LBB0_114:                              ; =>This Inner Loop Header: Depth=1
	v_cmp_eq_u32_e32 vcc, 1, v12
	v_cmp_eq_u32_e64 s[4:5], 2, v12
	v_cmp_eq_u32_e64 s[6:7], 3, v12
	;; [unrolled: 1-line block ×8, first 2 shown]
	v_lshl_add_u32 v12, v12, 2, v11
	buffer_load_dword v12, v12, s[0:3], 0 offen
	v_cndmask_b32_e32 v13, v23, v21, vcc
	v_cndmask_b32_e64 v13, v13, v19, s[4:5]
	v_cndmask_b32_e64 v13, v13, v25, s[6:7]
	;; [unrolled: 1-line block ×5, first 2 shown]
	v_cndmask_b32_e32 v14, v22, v20, vcc
	v_cndmask_b32_e64 v13, v13, v51, s[14:15]
	v_cndmask_b32_e64 v14, v14, v18, s[4:5]
	;; [unrolled: 1-line block ×3, first 2 shown]
	v_cndmask_b32_e32 v13, v107, v105, vcc
	v_cndmask_b32_e32 v16, v106, v104, vcc
	v_cndmask_b32_e64 v14, v14, v24, s[6:7]
	v_cndmask_b32_e64 v13, v13, v89, s[4:5]
	;; [unrolled: 1-line block ×20, first 2 shown]
	v_add_f64 v[14:15], -v[14:15], 1.0
	v_add_f64 v[14:15], v[14:15], -v[16:17]
	v_cndmask_b32_e32 v137, v137, v15, vcc
	v_cndmask_b32_e32 v136, v136, v14, vcc
	v_cndmask_b32_e64 v33, v33, v15, s[16:17]
	v_cndmask_b32_e64 v32, v32, v14, s[16:17]
	;; [unrolled: 1-line block ×16, first 2 shown]
	s_waitcnt vmcnt(0)
	v_cmp_gt_i32_e32 vcc, 0, v12
	s_or_b64 s[22:23], vcc, s[22:23]
	s_andn2_b64 exec, exec, s[22:23]
	s_cbranch_execnz .LBB0_114
; %bb.115:
	s_or_b64 exec, exec, s[22:23]
	buffer_store_dword v24, off, s[0:3], 0 offset:1140 ; 4-byte Folded Spill
	s_nop 0
	buffer_store_dword v25, off, s[0:3], 0 offset:1144 ; 4-byte Folded Spill
	buffer_store_dword v26, off, s[0:3], 0 offset:1148 ; 4-byte Folded Spill
	buffer_store_dword v27, off, s[0:3], 0 offset:1152 ; 4-byte Folded Spill
	buffer_store_dword v28, off, s[0:3], 0 offset:1156 ; 4-byte Folded Spill
	buffer_store_dword v29, off, s[0:3], 0 offset:1160 ; 4-byte Folded Spill
	buffer_store_dword v30, off, s[0:3], 0 offset:1164 ; 4-byte Folded Spill
	buffer_store_dword v31, off, s[0:3], 0 offset:1168 ; 4-byte Folded Spill
	buffer_store_dword v32, off, s[0:3], 0 offset:1172 ; 4-byte Folded Spill
	buffer_store_dword v33, off, s[0:3], 0 offset:1176 ; 4-byte Folded Spill
	buffer_store_dword v34, off, s[0:3], 0 offset:1180 ; 4-byte Folded Spill
	buffer_store_dword v35, off, s[0:3], 0 offset:1184 ; 4-byte Folded Spill
	buffer_store_dword v36, off, s[0:3], 0 offset:1188 ; 4-byte Folded Spill
	buffer_store_dword v37, off, s[0:3], 0 offset:1192 ; 4-byte Folded Spill
	buffer_store_dword v38, off, s[0:3], 0 offset:1196 ; 4-byte Folded Spill
	buffer_store_dword v39, off, s[0:3], 0 offset:1200 ; 4-byte Folded Spill
	buffer_store_dword v40, off, s[0:3], 0 offset:1204 ; 4-byte Folded Spill
	buffer_store_dword v41, off, s[0:3], 0 offset:1208 ; 4-byte Folded Spill
	buffer_store_dword v42, off, s[0:3], 0 offset:1212 ; 4-byte Folded Spill
	buffer_store_dword v43, off, s[0:3], 0 offset:1216 ; 4-byte Folded Spill
	buffer_store_dword v44, off, s[0:3], 0 offset:1220 ; 4-byte Folded Spill
	buffer_store_dword v45, off, s[0:3], 0 offset:1224 ; 4-byte Folded Spill
	buffer_store_dword v46, off, s[0:3], 0 offset:1228 ; 4-byte Folded Spill
	buffer_store_dword v47, off, s[0:3], 0 offset:1232 ; 4-byte Folded Spill
	buffer_store_dword v48, off, s[0:3], 0 offset:1236 ; 4-byte Folded Spill
	buffer_store_dword v49, off, s[0:3], 0 offset:1240 ; 4-byte Folded Spill
	buffer_store_dword v50, off, s[0:3], 0 offset:1244 ; 4-byte Folded Spill
	buffer_store_dword v51, off, s[0:3], 0 offset:1248 ; 4-byte Folded Spill
	buffer_store_dword v52, off, s[0:3], 0 offset:1252 ; 4-byte Folded Spill
	buffer_store_dword v53, off, s[0:3], 0 offset:1256 ; 4-byte Folded Spill
	buffer_store_dword v54, off, s[0:3], 0 offset:1260 ; 4-byte Folded Spill
	buffer_store_dword v55, off, s[0:3], 0 offset:1264 ; 4-byte Folded Spill
	buffer_store_dword v20, off, s[0:3], 0 offset:1012 ; 4-byte Folded Spill
	s_nop 0
	buffer_store_dword v21, off, s[0:3], 0 offset:1016 ; 4-byte Folded Spill
	buffer_store_dword v22, off, s[0:3], 0 offset:1020 ; 4-byte Folded Spill
	buffer_store_dword v23, off, s[0:3], 0 offset:1024 ; 4-byte Folded Spill
	buffer_store_dword v24, off, s[0:3], 0 offset:1028 ; 4-byte Folded Spill
	buffer_store_dword v25, off, s[0:3], 0 offset:1032 ; 4-byte Folded Spill
	buffer_store_dword v26, off, s[0:3], 0 offset:1036 ; 4-byte Folded Spill
	buffer_store_dword v27, off, s[0:3], 0 offset:1040 ; 4-byte Folded Spill
	buffer_store_dword v28, off, s[0:3], 0 offset:1044 ; 4-byte Folded Spill
	buffer_store_dword v29, off, s[0:3], 0 offset:1048 ; 4-byte Folded Spill
	buffer_store_dword v30, off, s[0:3], 0 offset:1052 ; 4-byte Folded Spill
	buffer_store_dword v31, off, s[0:3], 0 offset:1056 ; 4-byte Folded Spill
	buffer_store_dword v32, off, s[0:3], 0 offset:1060 ; 4-byte Folded Spill
	buffer_store_dword v33, off, s[0:3], 0 offset:1064 ; 4-byte Folded Spill
	buffer_store_dword v34, off, s[0:3], 0 offset:1068 ; 4-byte Folded Spill
	buffer_store_dword v35, off, s[0:3], 0 offset:1072 ; 4-byte Folded Spill
	buffer_store_dword v36, off, s[0:3], 0 offset:1076 ; 4-byte Folded Spill
	buffer_store_dword v37, off, s[0:3], 0 offset:1080 ; 4-byte Folded Spill
	buffer_store_dword v38, off, s[0:3], 0 offset:1084 ; 4-byte Folded Spill
	buffer_store_dword v39, off, s[0:3], 0 offset:1088 ; 4-byte Folded Spill
	buffer_store_dword v40, off, s[0:3], 0 offset:1092 ; 4-byte Folded Spill
	buffer_store_dword v41, off, s[0:3], 0 offset:1096 ; 4-byte Folded Spill
	buffer_store_dword v42, off, s[0:3], 0 offset:1100 ; 4-byte Folded Spill
	buffer_store_dword v43, off, s[0:3], 0 offset:1104 ; 4-byte Folded Spill
	buffer_store_dword v44, off, s[0:3], 0 offset:1108 ; 4-byte Folded Spill
	buffer_store_dword v45, off, s[0:3], 0 offset:1112 ; 4-byte Folded Spill
	buffer_store_dword v46, off, s[0:3], 0 offset:1116 ; 4-byte Folded Spill
	buffer_store_dword v47, off, s[0:3], 0 offset:1120 ; 4-byte Folded Spill
	buffer_store_dword v48, off, s[0:3], 0 offset:1124 ; 4-byte Folded Spill
	buffer_store_dword v49, off, s[0:3], 0 offset:1128 ; 4-byte Folded Spill
	buffer_store_dword v50, off, s[0:3], 0 offset:1132 ; 4-byte Folded Spill
	buffer_store_dword v51, off, s[0:3], 0 offset:1136 ; 4-byte Folded Spill
	;; [unrolled: 33-line block ×7, first 2 shown]
.LBB0_116:
	s_or_b64 exec, exec, s[20:21]
	v_cmp_lt_i32_e32 vcc, -1, v10
	s_and_saveexec_b64 s[18:19], vcc
	s_cbranch_execz .LBB0_122
; %bb.117:
	v_mov_b32_e32 v0, 16
	v_lshl_add_u32 v11, v10, 2, v0
	buffer_load_dword v16, v11, s[0:3], 0 offen
	s_waitcnt vmcnt(0)
	v_lshl_add_u32 v11, v16, 2, v0
	buffer_load_dword v1, v11, s[0:3], 0 offen
	s_waitcnt vmcnt(0)
	v_cmp_lt_i32_e32 vcc, -1, v1
	s_and_saveexec_b64 s[20:21], vcc
	s_cbranch_execz .LBB0_121
; %bb.118:
	buffer_load_dword v48, off, s[0:3], 0 offset:116 ; 4-byte Folded Reload
	buffer_load_dword v49, off, s[0:3], 0 offset:120 ; 4-byte Folded Reload
	;; [unrolled: 1-line block ×64, first 2 shown]
	v_cmp_eq_u32_e32 vcc, 1, v10
	v_cmp_eq_u32_e64 s[4:5], 2, v10
	v_cndmask_b32_e32 v12, v107, v105, vcc
	v_cndmask_b32_e32 v13, v106, v104, vcc
	v_cmp_eq_u32_e64 s[6:7], 3, v10
	v_cndmask_b32_e64 v12, v12, v89, s[4:5]
	v_cndmask_b32_e64 v13, v13, v88, s[4:5]
	v_cmp_eq_u32_e64 s[8:9], 4, v10
	v_cndmask_b32_e64 v12, v12, v121, s[6:7]
	v_cndmask_b32_e64 v13, v13, v120, s[6:7]
	v_cmp_eq_u32_e64 s[10:11], 5, v10
	v_cmp_eq_u32_e64 s[12:13], 6, v10
	;; [unrolled: 1-line block ×4, first 2 shown]
	v_cndmask_b32_e32 v11, v111, v103, vcc
	v_cndmask_b32_e32 v10, v110, v102, vcc
	;; [unrolled: 1-line block ×3, first 2 shown]
	v_cndmask_b32_e64 v11, v11, v109, s[4:5]
	v_cndmask_b32_e64 v10, v10, v108, s[4:5]
	;; [unrolled: 1-line block ×6, first 2 shown]
	s_mov_b64 s[22:23], 0
	s_waitcnt vmcnt(56)
	v_pk_mov_b32 v[92:93], v[54:55], v[54:55] op_sel:[0,1]
	s_waitcnt vmcnt(20)
	v_mov_b32_e32 v129, v29
	buffer_load_dword v18, off, s[0:3], 0 offset:2548 ; 4-byte Folded Reload
	buffer_load_dword v19, off, s[0:3], 0 offset:2552 ; 4-byte Folded Reload
	;; [unrolled: 1-line block ×32, first 2 shown]
	v_cndmask_b32_e64 v11, v11, v93, s[6:7]
	v_cndmask_b32_e64 v10, v10, v92, s[6:7]
	;; [unrolled: 1-line block ×5, first 2 shown]
	s_waitcnt vmcnt(18)
	v_mov_b32_e32 v127, v31
	buffer_load_dword v18, off, s[0:3], 0 offset:2420 ; 4-byte Folded Reload
	buffer_load_dword v19, off, s[0:3], 0 offset:2424 ; 4-byte Folded Reload
	buffer_load_dword v20, off, s[0:3], 0 offset:2428 ; 4-byte Folded Reload
	buffer_load_dword v21, off, s[0:3], 0 offset:2432 ; 4-byte Folded Reload
	buffer_load_dword v22, off, s[0:3], 0 offset:2436 ; 4-byte Folded Reload
	buffer_load_dword v23, off, s[0:3], 0 offset:2440 ; 4-byte Folded Reload
	buffer_load_dword v24, off, s[0:3], 0 offset:2444 ; 4-byte Folded Reload
	buffer_load_dword v25, off, s[0:3], 0 offset:2448 ; 4-byte Folded Reload
	buffer_load_dword v26, off, s[0:3], 0 offset:2452 ; 4-byte Folded Reload
	buffer_load_dword v27, off, s[0:3], 0 offset:2456 ; 4-byte Folded Reload
	buffer_load_dword v28, off, s[0:3], 0 offset:2460 ; 4-byte Folded Reload
	buffer_load_dword v29, off, s[0:3], 0 offset:2464 ; 4-byte Folded Reload
	buffer_load_dword v30, off, s[0:3], 0 offset:2468 ; 4-byte Folded Reload
	buffer_load_dword v31, off, s[0:3], 0 offset:2472 ; 4-byte Folded Reload
	buffer_load_dword v32, off, s[0:3], 0 offset:2476 ; 4-byte Folded Reload
	buffer_load_dword v33, off, s[0:3], 0 offset:2480 ; 4-byte Folded Reload
	buffer_load_dword v34, off, s[0:3], 0 offset:2484 ; 4-byte Folded Reload
	buffer_load_dword v35, off, s[0:3], 0 offset:2488 ; 4-byte Folded Reload
	buffer_load_dword v36, off, s[0:3], 0 offset:2492 ; 4-byte Folded Reload
	buffer_load_dword v37, off, s[0:3], 0 offset:2496 ; 4-byte Folded Reload
	buffer_load_dword v38, off, s[0:3], 0 offset:2500 ; 4-byte Folded Reload
	buffer_load_dword v39, off, s[0:3], 0 offset:2504 ; 4-byte Folded Reload
	buffer_load_dword v40, off, s[0:3], 0 offset:2508 ; 4-byte Folded Reload
	buffer_load_dword v41, off, s[0:3], 0 offset:2512 ; 4-byte Folded Reload
	buffer_load_dword v42, off, s[0:3], 0 offset:2516 ; 4-byte Folded Reload
	buffer_load_dword v43, off, s[0:3], 0 offset:2520 ; 4-byte Folded Reload
	buffer_load_dword v44, off, s[0:3], 0 offset:2524 ; 4-byte Folded Reload
	buffer_load_dword v45, off, s[0:3], 0 offset:2528 ; 4-byte Folded Reload
	buffer_load_dword v46, off, s[0:3], 0 offset:2532 ; 4-byte Folded Reload
	buffer_load_dword v47, off, s[0:3], 0 offset:2536 ; 4-byte Folded Reload
	buffer_load_dword v48, off, s[0:3], 0 offset:2540 ; 4-byte Folded Reload
	buffer_load_dword v49, off, s[0:3], 0 offset:2544 ; 4-byte Folded Reload
	v_cndmask_b32_e64 v11, v11, v127, s[12:13]
	s_waitcnt vmcnt(16)
	v_mov_b32_e32 v125, v33
	buffer_load_dword v18, off, s[0:3], 0 offset:3188 ; 4-byte Folded Reload
	buffer_load_dword v19, off, s[0:3], 0 offset:3192 ; 4-byte Folded Reload
	buffer_load_dword v20, off, s[0:3], 0 offset:3196 ; 4-byte Folded Reload
	buffer_load_dword v21, off, s[0:3], 0 offset:3200 ; 4-byte Folded Reload
	buffer_load_dword v22, off, s[0:3], 0 offset:3204 ; 4-byte Folded Reload
	buffer_load_dword v23, off, s[0:3], 0 offset:3208 ; 4-byte Folded Reload
	buffer_load_dword v24, off, s[0:3], 0 offset:3212 ; 4-byte Folded Reload
	buffer_load_dword v25, off, s[0:3], 0 offset:3216 ; 4-byte Folded Reload
	buffer_load_dword v26, off, s[0:3], 0 offset:3220 ; 4-byte Folded Reload
	buffer_load_dword v27, off, s[0:3], 0 offset:3224 ; 4-byte Folded Reload
	buffer_load_dword v28, off, s[0:3], 0 offset:3228 ; 4-byte Folded Reload
	buffer_load_dword v29, off, s[0:3], 0 offset:3232 ; 4-byte Folded Reload
	buffer_load_dword v30, off, s[0:3], 0 offset:3236 ; 4-byte Folded Reload
	buffer_load_dword v31, off, s[0:3], 0 offset:3240 ; 4-byte Folded Reload
	buffer_load_dword v32, off, s[0:3], 0 offset:3244 ; 4-byte Folded Reload
	buffer_load_dword v33, off, s[0:3], 0 offset:3248 ; 4-byte Folded Reload
	buffer_load_dword v34, off, s[0:3], 0 offset:3252 ; 4-byte Folded Reload
	buffer_load_dword v35, off, s[0:3], 0 offset:3256 ; 4-byte Folded Reload
	buffer_load_dword v36, off, s[0:3], 0 offset:3260 ; 4-byte Folded Reload
	buffer_load_dword v37, off, s[0:3], 0 offset:3264 ; 4-byte Folded Reload
	buffer_load_dword v38, off, s[0:3], 0 offset:3268 ; 4-byte Folded Reload
	buffer_load_dword v39, off, s[0:3], 0 offset:3272 ; 4-byte Folded Reload
	buffer_load_dword v40, off, s[0:3], 0 offset:3276 ; 4-byte Folded Reload
	buffer_load_dword v41, off, s[0:3], 0 offset:3280 ; 4-byte Folded Reload
	buffer_load_dword v42, off, s[0:3], 0 offset:3284 ; 4-byte Folded Reload
	buffer_load_dword v43, off, s[0:3], 0 offset:3288 ; 4-byte Folded Reload
	buffer_load_dword v44, off, s[0:3], 0 offset:3292 ; 4-byte Folded Reload
	buffer_load_dword v45, off, s[0:3], 0 offset:3296 ; 4-byte Folded Reload
	buffer_load_dword v46, off, s[0:3], 0 offset:3300 ; 4-byte Folded Reload
	buffer_load_dword v47, off, s[0:3], 0 offset:3304 ; 4-byte Folded Reload
	buffer_load_dword v48, off, s[0:3], 0 offset:3308 ; 4-byte Folded Reload
	buffer_load_dword v49, off, s[0:3], 0 offset:3312 ; 4-byte Folded Reload
	v_cndmask_b32_e64 v11, v11, v125, s[14:15]
	;; [unrolled: 35-line block ×5, first 2 shown]
	s_waitcnt vmcnt(14)
	v_mov_b32_e32 v115, v35
	buffer_load_dword v18, off, s[0:3], 0 offset:2804 ; 4-byte Folded Reload
	buffer_load_dword v19, off, s[0:3], 0 offset:2808 ; 4-byte Folded Reload
	;; [unrolled: 1-line block ×64, first 2 shown]
	v_cndmask_b32_e64 v11, v11, v115, s[16:17]
	s_waitcnt vmcnt(47)
	v_mov_b32_e32 v126, v34
	buffer_load_dword v18, off, s[0:3], 0 offset:1652 ; 4-byte Folded Reload
	buffer_load_dword v19, off, s[0:3], 0 offset:1656 ; 4-byte Folded Reload
	buffer_load_dword v20, off, s[0:3], 0 offset:1660 ; 4-byte Folded Reload
	buffer_load_dword v21, off, s[0:3], 0 offset:1664 ; 4-byte Folded Reload
	buffer_load_dword v22, off, s[0:3], 0 offset:1668 ; 4-byte Folded Reload
	buffer_load_dword v23, off, s[0:3], 0 offset:1672 ; 4-byte Folded Reload
	buffer_load_dword v24, off, s[0:3], 0 offset:1676 ; 4-byte Folded Reload
	buffer_load_dword v25, off, s[0:3], 0 offset:1680 ; 4-byte Folded Reload
	buffer_load_dword v26, off, s[0:3], 0 offset:1684 ; 4-byte Folded Reload
	buffer_load_dword v27, off, s[0:3], 0 offset:1688 ; 4-byte Folded Reload
	buffer_load_dword v28, off, s[0:3], 0 offset:1692 ; 4-byte Folded Reload
	buffer_load_dword v29, off, s[0:3], 0 offset:1696 ; 4-byte Folded Reload
	buffer_load_dword v30, off, s[0:3], 0 offset:1700 ; 4-byte Folded Reload
	buffer_load_dword v31, off, s[0:3], 0 offset:1704 ; 4-byte Folded Reload
	buffer_load_dword v32, off, s[0:3], 0 offset:1708 ; 4-byte Folded Reload
	buffer_load_dword v33, off, s[0:3], 0 offset:1712 ; 4-byte Folded Reload
	buffer_load_dword v34, off, s[0:3], 0 offset:1716 ; 4-byte Folded Reload
	buffer_load_dword v35, off, s[0:3], 0 offset:1720 ; 4-byte Folded Reload
	buffer_load_dword v36, off, s[0:3], 0 offset:1724 ; 4-byte Folded Reload
	buffer_load_dword v37, off, s[0:3], 0 offset:1728 ; 4-byte Folded Reload
	buffer_load_dword v38, off, s[0:3], 0 offset:1732 ; 4-byte Folded Reload
	buffer_load_dword v39, off, s[0:3], 0 offset:1736 ; 4-byte Folded Reload
	buffer_load_dword v40, off, s[0:3], 0 offset:1740 ; 4-byte Folded Reload
	buffer_load_dword v41, off, s[0:3], 0 offset:1744 ; 4-byte Folded Reload
	buffer_load_dword v42, off, s[0:3], 0 offset:1748 ; 4-byte Folded Reload
	buffer_load_dword v43, off, s[0:3], 0 offset:1752 ; 4-byte Folded Reload
	buffer_load_dword v44, off, s[0:3], 0 offset:1756 ; 4-byte Folded Reload
	buffer_load_dword v45, off, s[0:3], 0 offset:1760 ; 4-byte Folded Reload
	buffer_load_dword v46, off, s[0:3], 0 offset:1764 ; 4-byte Folded Reload
	buffer_load_dword v47, off, s[0:3], 0 offset:1768 ; 4-byte Folded Reload
	buffer_load_dword v48, off, s[0:3], 0 offset:1772 ; 4-byte Folded Reload
	buffer_load_dword v49, off, s[0:3], 0 offset:1776 ; 4-byte Folded Reload
	s_waitcnt vmcnt(54)
	v_pk_mov_b32 v[94:95], v[64:65], v[64:65] op_sel:[0,1]
	v_cndmask_b32_e64 v12, v12, v95, s[8:9]
	v_cndmask_b32_e64 v13, v13, v94, s[8:9]
	;; [unrolled: 1-line block ×3, first 2 shown]
	s_waitcnt vmcnt(20)
	v_mov_b32_e32 v113, v29
	buffer_load_dword v18, off, s[0:3], 0 offset:1524 ; 4-byte Folded Reload
	buffer_load_dword v19, off, s[0:3], 0 offset:1528 ; 4-byte Folded Reload
	buffer_load_dword v20, off, s[0:3], 0 offset:1532 ; 4-byte Folded Reload
	buffer_load_dword v21, off, s[0:3], 0 offset:1536 ; 4-byte Folded Reload
	buffer_load_dword v22, off, s[0:3], 0 offset:1540 ; 4-byte Folded Reload
	buffer_load_dword v23, off, s[0:3], 0 offset:1544 ; 4-byte Folded Reload
	buffer_load_dword v24, off, s[0:3], 0 offset:1548 ; 4-byte Folded Reload
	buffer_load_dword v25, off, s[0:3], 0 offset:1552 ; 4-byte Folded Reload
	buffer_load_dword v26, off, s[0:3], 0 offset:1556 ; 4-byte Folded Reload
	buffer_load_dword v27, off, s[0:3], 0 offset:1560 ; 4-byte Folded Reload
	buffer_load_dword v28, off, s[0:3], 0 offset:1564 ; 4-byte Folded Reload
	buffer_load_dword v29, off, s[0:3], 0 offset:1568 ; 4-byte Folded Reload
	buffer_load_dword v30, off, s[0:3], 0 offset:1572 ; 4-byte Folded Reload
	buffer_load_dword v31, off, s[0:3], 0 offset:1576 ; 4-byte Folded Reload
	buffer_load_dword v32, off, s[0:3], 0 offset:1580 ; 4-byte Folded Reload
	buffer_load_dword v33, off, s[0:3], 0 offset:1584 ; 4-byte Folded Reload
	buffer_load_dword v34, off, s[0:3], 0 offset:1588 ; 4-byte Folded Reload
	buffer_load_dword v35, off, s[0:3], 0 offset:1592 ; 4-byte Folded Reload
	buffer_load_dword v36, off, s[0:3], 0 offset:1596 ; 4-byte Folded Reload
	buffer_load_dword v37, off, s[0:3], 0 offset:1600 ; 4-byte Folded Reload
	buffer_load_dword v38, off, s[0:3], 0 offset:1604 ; 4-byte Folded Reload
	buffer_load_dword v39, off, s[0:3], 0 offset:1608 ; 4-byte Folded Reload
	buffer_load_dword v40, off, s[0:3], 0 offset:1612 ; 4-byte Folded Reload
	buffer_load_dword v41, off, s[0:3], 0 offset:1616 ; 4-byte Folded Reload
	buffer_load_dword v42, off, s[0:3], 0 offset:1620 ; 4-byte Folded Reload
	buffer_load_dword v43, off, s[0:3], 0 offset:1624 ; 4-byte Folded Reload
	buffer_load_dword v44, off, s[0:3], 0 offset:1628 ; 4-byte Folded Reload
	buffer_load_dword v45, off, s[0:3], 0 offset:1632 ; 4-byte Folded Reload
	buffer_load_dword v46, off, s[0:3], 0 offset:1636 ; 4-byte Folded Reload
	buffer_load_dword v47, off, s[0:3], 0 offset:1640 ; 4-byte Folded Reload
	buffer_load_dword v48, off, s[0:3], 0 offset:1644 ; 4-byte Folded Reload
	buffer_load_dword v49, off, s[0:3], 0 offset:1648 ; 4-byte Folded Reload
	v_cndmask_b32_e64 v12, v12, v113, s[10:11]
	s_waitcnt vmcnt(18)
	v_mov_b32_e32 v101, v31
	buffer_load_dword v18, off, s[0:3], 0 offset:1396 ; 4-byte Folded Reload
	buffer_load_dword v19, off, s[0:3], 0 offset:1400 ; 4-byte Folded Reload
	buffer_load_dword v20, off, s[0:3], 0 offset:1404 ; 4-byte Folded Reload
	buffer_load_dword v21, off, s[0:3], 0 offset:1408 ; 4-byte Folded Reload
	buffer_load_dword v22, off, s[0:3], 0 offset:1412 ; 4-byte Folded Reload
	buffer_load_dword v23, off, s[0:3], 0 offset:1416 ; 4-byte Folded Reload
	buffer_load_dword v24, off, s[0:3], 0 offset:1420 ; 4-byte Folded Reload
	buffer_load_dword v25, off, s[0:3], 0 offset:1424 ; 4-byte Folded Reload
	buffer_load_dword v26, off, s[0:3], 0 offset:1428 ; 4-byte Folded Reload
	buffer_load_dword v27, off, s[0:3], 0 offset:1432 ; 4-byte Folded Reload
	buffer_load_dword v28, off, s[0:3], 0 offset:1436 ; 4-byte Folded Reload
	buffer_load_dword v29, off, s[0:3], 0 offset:1440 ; 4-byte Folded Reload
	buffer_load_dword v30, off, s[0:3], 0 offset:1444 ; 4-byte Folded Reload
	buffer_load_dword v31, off, s[0:3], 0 offset:1448 ; 4-byte Folded Reload
	buffer_load_dword v32, off, s[0:3], 0 offset:1452 ; 4-byte Folded Reload
	buffer_load_dword v33, off, s[0:3], 0 offset:1456 ; 4-byte Folded Reload
	buffer_load_dword v34, off, s[0:3], 0 offset:1460 ; 4-byte Folded Reload
	buffer_load_dword v35, off, s[0:3], 0 offset:1464 ; 4-byte Folded Reload
	buffer_load_dword v36, off, s[0:3], 0 offset:1468 ; 4-byte Folded Reload
	buffer_load_dword v37, off, s[0:3], 0 offset:1472 ; 4-byte Folded Reload
	buffer_load_dword v38, off, s[0:3], 0 offset:1476 ; 4-byte Folded Reload
	buffer_load_dword v39, off, s[0:3], 0 offset:1480 ; 4-byte Folded Reload
	buffer_load_dword v40, off, s[0:3], 0 offset:1484 ; 4-byte Folded Reload
	buffer_load_dword v41, off, s[0:3], 0 offset:1488 ; 4-byte Folded Reload
	buffer_load_dword v42, off, s[0:3], 0 offset:1492 ; 4-byte Folded Reload
	buffer_load_dword v43, off, s[0:3], 0 offset:1496 ; 4-byte Folded Reload
	buffer_load_dword v44, off, s[0:3], 0 offset:1500 ; 4-byte Folded Reload
	buffer_load_dword v45, off, s[0:3], 0 offset:1504 ; 4-byte Folded Reload
	buffer_load_dword v46, off, s[0:3], 0 offset:1508 ; 4-byte Folded Reload
	buffer_load_dword v47, off, s[0:3], 0 offset:1512 ; 4-byte Folded Reload
	buffer_load_dword v48, off, s[0:3], 0 offset:1516 ; 4-byte Folded Reload
	buffer_load_dword v49, off, s[0:3], 0 offset:1520 ; 4-byte Folded Reload
	v_cndmask_b32_e64 v12, v12, v101, s[12:13]
	;; [unrolled: 35-line block ×6, first 2 shown]
	s_waitcnt vmcnt(14)
	v_mov_b32_e32 v97, v35
	buffer_load_dword v18, off, s[0:3], 0 offset:1780 ; 4-byte Folded Reload
	buffer_load_dword v19, off, s[0:3], 0 offset:1784 ; 4-byte Folded Reload
	;; [unrolled: 1-line block ×64, first 2 shown]
	v_cndmask_b32_e64 v13, v12, v97, s[16:17]
	s_waitcnt vmcnt(47)
	v_mov_b32_e32 v98, v34
	s_waitcnt vmcnt(20)
	v_mov_b32_e32 v91, v67
	buffer_load_dword v56, off, s[0:3], 0 offset:628 ; 4-byte Folded Reload
	buffer_load_dword v57, off, s[0:3], 0 offset:632 ; 4-byte Folded Reload
	;; [unrolled: 1-line block ×32, first 2 shown]
	v_cndmask_b32_e64 v12, v14, v98, s[16:17]
	v_cndmask_b32_e32 v14, v153, v137, vcc
	v_cndmask_b32_e64 v14, v14, v159, s[4:5]
	v_cndmask_b32_e64 v14, v14, v119, s[6:7]
	;; [unrolled: 1-line block ×4, first 2 shown]
	v_cmp_eq_u32_e32 vcc, 1, v16
	v_cmp_eq_u32_e64 s[4:5], 2, v16
	v_cndmask_b32_e32 v18, v111, v103, vcc
	v_cmp_eq_u32_e64 s[6:7], 3, v16
	v_cndmask_b32_e64 v18, v18, v109, s[4:5]
	v_cmp_eq_u32_e64 s[8:9], 4, v16
	v_cndmask_b32_e64 v18, v18, v93, s[6:7]
	v_cmp_eq_u32_e64 s[10:11], 5, v16
	v_cndmask_b32_e64 v18, v18, v117, s[8:9]
	v_cndmask_b32_e64 v18, v18, v129, s[10:11]
	s_waitcnt vmcnt(18)
	v_mov_b32_e32 v19, v69
	buffer_load_dword v56, off, s[0:3], 0 offset:500 ; 4-byte Folded Reload
	buffer_load_dword v57, off, s[0:3], 0 offset:504 ; 4-byte Folded Reload
	;; [unrolled: 1-line block ×64, first 2 shown]
	v_cndmask_b32_e64 v14, v14, v19, s[12:13]
	s_waitcnt vmcnt(48)
	v_mov_b32_e32 v53, v71
	s_waitcnt vmcnt(19)
	v_mov_b32_e32 v96, v32
	buffer_load_dword v20, off, s[0:3], 0 offset:1012 ; 4-byte Folded Reload
	buffer_load_dword v21, off, s[0:3], 0 offset:1016 ; 4-byte Folded Reload
	;; [unrolled: 1-line block ×64, first 2 shown]
	v_cndmask_b32_e64 v14, v14, v53, s[14:15]
	s_waitcnt vmcnt(26)
	v_mov_b32_e32 v61, v53
	v_mov_b32_e32 v59, v19
	v_cndmask_b32_e32 v19, v110, v102, vcc
	v_cndmask_b32_e64 v19, v19, v108, s[4:5]
	v_cndmask_b32_e64 v19, v19, v92, s[6:7]
	;; [unrolled: 1-line block ×4, first 2 shown]
	v_cmp_eq_u32_e64 s[12:13], 6, v16
	v_cndmask_b32_e64 v19, v19, v132, s[10:11]
	v_cndmask_b32_e64 v18, v18, v127, s[12:13]
	;; [unrolled: 1-line block ×3, first 2 shown]
	v_mov_b32_e32 v90, v34
	buffer_load_dword v26, off, s[0:3], 0 offset:884 ; 4-byte Folded Reload
	buffer_load_dword v27, off, s[0:3], 0 offset:888 ; 4-byte Folded Reload
	;; [unrolled: 1-line block ×32, first 2 shown]
	v_cndmask_b32_e64 v17, v15, v90, s[14:15]
	s_waitcnt vmcnt(46)
	v_mov_b32_e32 v63, v73
	v_cmp_eq_u32_e64 s[14:15], 7, v16
	v_cndmask_b32_e64 v15, v14, v63, s[16:17]
	v_cndmask_b32_e64 v18, v18, v125, s[14:15]
	;; [unrolled: 1-line block ×3, first 2 shown]
	s_waitcnt vmcnt(15)
	v_cndmask_b32_e64 v14, v17, v42, s[16:17]
	v_cndmask_b32_e32 v17, v107, v105, vcc
	v_cmp_eq_u32_e64 s[16:17], 8, v16
	v_cndmask_b32_e32 v16, v106, v104, vcc
	v_cndmask_b32_e64 v17, v17, v89, s[4:5]
	v_cndmask_b32_e64 v16, v16, v88, s[4:5]
	;; [unrolled: 1-line block ×4, first 2 shown]
	v_cndmask_b32_e32 v18, v153, v137, vcc
	v_cndmask_b32_e32 v19, v152, v136, vcc
	v_cndmask_b32_e64 v17, v17, v121, s[6:7]
	v_cndmask_b32_e64 v16, v16, v120, s[6:7]
	;; [unrolled: 1-line block ×26, first 2 shown]
	v_add_f64 v[30:31], v[16:17], -v[12:13]
	v_add_f64 v[28:29], v[24:25], -v[10:11]
	v_mul_f64 v[18:19], v[10:11], v[14:15]
	v_mul_f64 v[20:21], v[12:13], v[14:15]
	;; [unrolled: 1-line block ×3, first 2 shown]
.LBB0_119:                              ; =>This Inner Loop Header: Depth=1
	v_cmp_eq_u32_e32 vcc, 1, v1
	v_cndmask_b32_e32 v36, v111, v103, vcc
	v_cmp_eq_u32_e64 s[4:5], 2, v1
	v_cndmask_b32_e32 v37, v110, v102, vcc
	v_cndmask_b32_e64 v36, v36, v109, s[4:5]
	v_cmp_eq_u32_e64 s[6:7], 3, v1
	v_cndmask_b32_e64 v37, v37, v108, s[4:5]
	v_cndmask_b32_e64 v36, v36, v93, s[6:7]
	v_cmp_eq_u32_e64 s[8:9], 4, v1
	v_cndmask_b32_e64 v37, v37, v92, s[6:7]
	;; [unrolled: 3-line block ×6, first 2 shown]
	v_cndmask_b32_e64 v37, v36, v115, s[16:17]
	v_cndmask_b32_e64 v36, v38, v126, s[16:17]
	v_cndmask_b32_e32 v38, v107, v105, vcc
	v_cndmask_b32_e32 v39, v106, v104, vcc
	v_cndmask_b32_e64 v38, v38, v89, s[4:5]
	v_cndmask_b32_e64 v39, v39, v88, s[4:5]
	;; [unrolled: 1-line block ×14, first 2 shown]
	v_add_f64 v[40:41], v[36:37], -v[10:11]
	v_mul_f64 v[30:31], v[40:41], v[30:31]
	s_waitcnt vmcnt(12)
	v_add_f64 v[44:45], v[38:39], -v[12:13]
	v_fma_f64 v[28:29], v[44:45], v[28:29], -v[30:31]
	v_cndmask_b32_e32 v30, v153, v137, vcc
	v_cndmask_b32_e32 v31, v152, v136, vcc
	v_cndmask_b32_e64 v30, v30, v159, s[4:5]
	v_cndmask_b32_e64 v31, v31, v158, s[4:5]
	;; [unrolled: 1-line block ×12, first 2 shown]
	s_waitcnt vmcnt(10)
	v_cndmask_b32_e64 v47, v30, v63, s[16:17]
	v_cndmask_b32_e64 v46, v31, v42, s[16:17]
	s_waitcnt vmcnt(8)
	v_fma_f64 v[48:49], v[26:27], v[26:27], v[22:23]
	v_fmac_f64_e32 v[48:49], v[46:47], v[46:47]
	v_fmac_f64_e32 v[48:49], v[14:15], v[26:27]
	;; [unrolled: 1-line block ×3, first 2 shown]
	s_waitcnt vmcnt(6)
	v_add_f64 v[50:51], v[14:15], v[26:27]
	v_add_f64 v[30:31], v[10:11], v[24:25]
	v_fma_f64 v[24:25], v[24:25], v[26:27], v[18:19]
	v_fmac_f64_e32 v[48:49], v[46:47], v[26:27]
	v_fma_f64 v[26:27], v[16:17], v[26:27], v[20:21]
	v_add_f64 v[16:17], v[12:13], v[16:17]
	v_add_f64 v[50:51], v[46:47], v[50:51]
	;; [unrolled: 1-line block ×3, first 2 shown]
	v_fmac_f64_e32 v[142:143], v[50:51], v[28:29]
	v_mul_f64 v[50:51], v[50:51], v[28:29]
	v_mul_f64 v[16:17], v[16:17], v[50:51]
	v_fmac_f64_e32 v[26:27], v[38:39], v[46:47]
	v_fmac_f64_e32 v[16:17], v[26:27], v[28:29]
	v_add_f64 v[156:157], v[156:157], v[16:17]
	v_lshl_add_u32 v16, v1, 2, v0
	buffer_load_dword v1, v16, s[0:3], 0 offen
	v_add_f64 v[30:31], v[30:31], v[36:37]
	v_mul_f64 v[30:31], v[30:31], v[50:51]
	v_fmac_f64_e32 v[24:25], v[46:47], v[36:37]
	v_fmac_f64_e32 v[30:31], v[24:25], v[28:29]
	v_fmac_f64_e32 v[166:167], v[28:29], v[48:49]
	v_add_f64 v[154:155], v[154:155], v[30:31]
	v_pk_mov_b32 v[24:25], v[36:37], v[36:37] op_sel:[0,1]
	v_pk_mov_b32 v[16:17], v[38:39], v[38:39] op_sel:[0,1]
	;; [unrolled: 1-line block ×5, first 2 shown]
	s_waitcnt vmcnt(0)
	v_cmp_gt_i32_e32 vcc, 0, v1
	s_or_b64 s[22:23], vcc, s[22:23]
	s_andn2_b64 exec, exec, s[22:23]
	s_cbranch_execnz .LBB0_119
; %bb.120:
	s_or_b64 exec, exec, s[22:23]
.LBB0_121:
	s_or_b64 exec, exec, s[20:21]
.LBB0_122:
	s_or_b64 exec, exec, s[18:19]
	s_mov_b32 s5, 0x3fc55555
	s_mov_b32 s4, 0x55555555
	v_mul_f64 v[0:1], v[142:143], s[4:5]
	s_mov_b32 s5, 0x3fa55555
	v_mul_f64 v[2:3], v[154:155], s[4:5]
	v_mul_f64 v[4:5], v[156:157], s[4:5]
	;; [unrolled: 1-line block ×3, first 2 shown]
	s_mov_b32 s4, 0x4a900
	buffer_load_dword v8, off, s[0:3], s4   ; 4-byte Folded Reload
	buffer_load_dword v9, off, s[0:3], s4 offset:4 ; 4-byte Folded Reload
	s_mov_b32 s4, 0x48d00
	buffer_load_dword v10, off, s[0:3], s4  ; 4-byte Folded Reload
	buffer_load_dword v11, off, s[0:3], s4 offset:4 ; 4-byte Folded Reload
	s_mov_b32 s4, 0x4a700
	s_waitcnt vmcnt(2)
	v_mul_f64 v[8:9], v[8:9], v[2:3]
	s_waitcnt vmcnt(0)
	v_fmac_f64_e32 v[8:9], v[10:11], v[0:1]
	buffer_load_dword v10, off, s[0:3], s4  ; 4-byte Folded Reload
	buffer_load_dword v11, off, s[0:3], s4 offset:4 ; 4-byte Folded Reload
	s_mov_b32 s4, 0x4a500
	s_waitcnt vmcnt(0)
	v_fmac_f64_e32 v[8:9], v[10:11], v[4:5]
	buffer_load_dword v10, off, s[0:3], s4  ; 4-byte Folded Reload
	buffer_load_dword v11, off, s[0:3], s4 offset:4 ; 4-byte Folded Reload
	s_mov_b32 s4, 0x4a100
	buffer_load_dword v14, off, s[0:3], s4  ; 4-byte Folded Reload
	buffer_load_dword v15, off, s[0:3], s4 offset:4 ; 4-byte Folded Reload
	s_mov_b32 s4, 0x4a300
	s_waitcnt vmcnt(2)
	v_fmac_f64_e32 v[8:9], v[10:11], v[6:7]
	s_waitcnt vmcnt(0)
	v_mul_f64 v[8:9], v[14:15], v[8:9]
	v_add_f64 v[16:17], v[8:9], 0
	buffer_load_dword v8, off, s[0:3], s4   ; 4-byte Folded Reload
	buffer_load_dword v9, off, s[0:3], s4 offset:4 ; 4-byte Folded Reload
	s_mov_b32 s4, 0x49300
	buffer_load_dword v10, off, s[0:3], s4  ; 4-byte Folded Reload
	buffer_load_dword v11, off, s[0:3], s4 offset:4 ; 4-byte Folded Reload
	buffer_load_dword v12, off, s[0:3], s4 offset:8 ; 4-byte Folded Reload
	buffer_load_dword v13, off, s[0:3], s4 offset:12 ; 4-byte Folded Reload
	s_mov_b32 s4, 0x49f00
	buffer_load_dword v10, off, s[0:3], s4  ; 4-byte Folded Reload
	buffer_load_dword v11, off, s[0:3], s4 offset:4 ; 4-byte Folded Reload
	s_mov_b32 s4, 0x49d00
	s_waitcnt vmcnt(6)
	v_mul_f64 v[8:9], v[8:9], v[2:3]
	s_waitcnt vmcnt(2)
	v_fmac_f64_e32 v[8:9], v[12:13], v[0:1]
	s_waitcnt vmcnt(0)
	v_fmac_f64_e32 v[8:9], v[10:11], v[4:5]
	buffer_load_dword v10, off, s[0:3], s4  ; 4-byte Folded Reload
	buffer_load_dword v11, off, s[0:3], s4 offset:4 ; 4-byte Folded Reload
	s_mov_b32 s4, 0x49b00
	s_waitcnt vmcnt(0)
	v_fmac_f64_e32 v[8:9], v[10:11], v[6:7]
	v_mul_f64 v[8:9], v[14:15], v[8:9]
	v_add_f64 v[18:19], v[8:9], 0
	buffer_load_dword v8, off, s[0:3], s4   ; 4-byte Folded Reload
	buffer_load_dword v9, off, s[0:3], s4 offset:4 ; 4-byte Folded Reload
	s_mov_b32 s4, 0x48f00
	s_waitcnt vmcnt(0)
	v_mul_f64 v[2:3], v[8:9], v[2:3]
	buffer_load_dword v8, off, s[0:3], s4   ; 4-byte Folded Reload
	buffer_load_dword v9, off, s[0:3], s4 offset:4 ; 4-byte Folded Reload
	buffer_load_dword v10, off, s[0:3], s4 offset:8 ; 4-byte Folded Reload
	;; [unrolled: 1-line block ×3, first 2 shown]
	s_mov_b32 s4, 0x49900
	buffer_load_dword v8, off, s[0:3], s4   ; 4-byte Folded Reload
	buffer_load_dword v9, off, s[0:3], s4 offset:4 ; 4-byte Folded Reload
	s_mov_b32 s4, 0x49700
	s_waitcnt vmcnt(2)
	v_fmac_f64_e32 v[2:3], v[10:11], v[0:1]
	v_mul_f64 v[0:1], v[14:15], v[0:1]
	s_waitcnt vmcnt(0)
	v_fmac_f64_e32 v[2:3], v[8:9], v[4:5]
	buffer_load_dword v4, off, s[0:3], s4   ; 4-byte Folded Reload
	buffer_load_dword v5, off, s[0:3], s4 offset:4 ; 4-byte Folded Reload
	s_mov_b32 s4, 0x48b00
	buffer_load_dword v24, off, s[0:3], s4  ; 4-byte Folded Reload
	buffer_load_dword v25, off, s[0:3], s4 offset:4 ; 4-byte Folded Reload
	v_add_f64 v[22:23], v[0:1], 0
	s_waitcnt vmcnt(2)
	v_fmac_f64_e32 v[2:3], v[4:5], v[6:7]
	v_mul_f64 v[2:3], v[14:15], v[2:3]
	v_add_f64 v[20:21], v[2:3], 0
.LBB0_123:
	s_or_b64 exec, exec, s[52:53]
	s_movk_i32 s6, 0x48
	s_waitcnt vmcnt(1)
	v_mad_u64_u32 v[0:1], s[4:5], v24, s6, 0
	v_mov_b32_e32 v2, v1
	s_waitcnt vmcnt(0)
	v_mad_u64_u32 v[2:3], s[4:5], v25, s6, v[2:3]
	v_mov_b32_e32 v1, v2
	v_pk_mov_b32 v[2:3], 0, 0
	v_cmp_lt_u64_e32 vcc, s[56:57], v[0:1]
	v_pk_mov_b32 v[0:1], v[22:23], v[22:23] op_sel:[0,1]
	v_pk_mov_b32 v[4:5], v[16:17], v[16:17] op_sel:[0,1]
	;; [unrolled: 1-line block ×7, first 2 shown]
	s_and_saveexec_b64 s[4:5], vcc
; %bb.124:
	v_pk_mov_b32 v[0:1], 0, 0
	v_pk_mov_b32 v[4:5], v[0:1], v[0:1] op_sel:[0,1]
	v_pk_mov_b32 v[6:7], v[0:1], v[0:1] op_sel:[0,1]
	;; [unrolled: 1-line block ×7, first 2 shown]
; %bb.125:
	s_or_b64 exec, exec, s[4:5]
	v_mbcnt_lo_u32_b32 v16, -1, 0
	v_mbcnt_hi_u32_b32 v16, -1, v16
	v_and_b32_e32 v17, 64, v16
	v_add_u32_e32 v17, 64, v17
	s_mov_b64 s[4:5], 1
	s_waitcnt lgkmcnt(0)
	; wave barrier
.LBB0_126:                              ; =>This Inner Loop Header: Depth=1
	v_xor_b32_e32 v18, s4, v16
	v_cmp_lt_i32_e32 vcc, v18, v17
	v_cndmask_b32_e32 v18, v16, v18, vcc
	v_lshlrev_b32_e32 v33, 2, v18
	ds_bpermute_b32 v18, v33, v14
	ds_bpermute_b32 v19, v33, v15
	;; [unrolled: 1-line block ×16, first 2 shown]
	s_lshl_b64 s[6:7], s[4:5], 1
	v_cmp_gt_u64_e64 s[4:5], s[4:5], 31
	s_and_b64 vcc, exec, s[4:5]
	s_mov_b64 s[4:5], s[6:7]
	s_waitcnt lgkmcnt(14)
	v_add_f64 v[14:15], v[14:15], v[18:19]
	s_waitcnt lgkmcnt(12)
	v_add_f64 v[12:13], v[12:13], v[20:21]
	;; [unrolled: 2-line block ×8, first 2 shown]
	s_cbranch_vccz .LBB0_126
; %bb.127:
	s_mov_b32 s4, 0x45d00
	buffer_load_dword v18, off, s[0:3], s4  ; 4-byte Folded Reload
	buffer_load_dword v19, off, s[0:3], s4 offset:4 ; 4-byte Folded Reload
	s_waitcnt vmcnt(1)
	v_and_b32_e32 v16, 63, v18
	v_cmp_eq_u32_e32 vcc, 0, v16
	s_and_saveexec_b64 s[4:5], vcc
	s_cbranch_execz .LBB0_129
; %bb.128:
	v_lshrrev_b32_e32 v16, 3, v18
	ds_write2_b64 v16, v[0:1], v[4:5] offset1:2
	ds_write2_b64 v16, v[6:7], v[8:9] offset0:4 offset1:6
	ds_write2_b64 v16, v[14:15], v[12:13] offset0:8 offset1:10
	;; [unrolled: 1-line block ×3, first 2 shown]
.LBB0_129:
	s_or_b64 exec, exec, s[4:5]
	v_cmp_gt_u32_e32 vcc, 8, v18
	s_waitcnt lgkmcnt(0)
	; wave barrier
	s_waitcnt lgkmcnt(0)
	s_and_saveexec_b64 s[4:5], vcc
	s_cbranch_execz .LBB0_131
; %bb.130:
	v_lshlrev_b32_e32 v2, 4, v18
	ds_read_b64 v[2:3], v2
	s_add_u32 s4, s54, s56
	s_addc_u32 s5, s55, s57
	s_waitcnt vmcnt(0)
	v_lshlrev_b64 v[0:1], 3, v[18:19]
	v_mov_b32_e32 v4, s5
	v_add_co_u32_e32 v0, vcc, s4, v0
	v_addc_co_u32_e32 v1, vcc, v4, v1, vcc
	s_waitcnt lgkmcnt(0)
	global_store_dwordx2 v[0:1], v[2:3], off
.LBB0_131:
	s_endpgm
	.section	.rodata,"a",@progbits
	.p2align	6, 0x0
	.amdhsa_kernel _ZN8rajaperf4apps16intsc_hexhex_hipILm64EEEvPdS2_mS2_
		.amdhsa_group_segment_fixed_size 128
		.amdhsa_private_segment_fixed_size 4784
		.amdhsa_kernarg_size 32
		.amdhsa_user_sgpr_count 8
		.amdhsa_user_sgpr_private_segment_buffer 1
		.amdhsa_user_sgpr_dispatch_ptr 0
		.amdhsa_user_sgpr_queue_ptr 0
		.amdhsa_user_sgpr_kernarg_segment_ptr 1
		.amdhsa_user_sgpr_dispatch_id 0
		.amdhsa_user_sgpr_flat_scratch_init 1
		.amdhsa_user_sgpr_kernarg_preload_length 0
		.amdhsa_user_sgpr_kernarg_preload_offset 0
		.amdhsa_user_sgpr_private_segment_size 0
		.amdhsa_uses_dynamic_stack 0
		.amdhsa_system_sgpr_private_segment_wavefront_offset 1
		.amdhsa_system_sgpr_workgroup_id_x 1
		.amdhsa_system_sgpr_workgroup_id_y 0
		.amdhsa_system_sgpr_workgroup_id_z 0
		.amdhsa_system_sgpr_workgroup_info 0
		.amdhsa_system_vgpr_workitem_id 0
		.amdhsa_next_free_vgpr 168
		.amdhsa_next_free_sgpr 60
		.amdhsa_accum_offset 168
		.amdhsa_reserve_vcc 1
		.amdhsa_reserve_flat_scratch 0
		.amdhsa_float_round_mode_32 0
		.amdhsa_float_round_mode_16_64 0
		.amdhsa_float_denorm_mode_32 3
		.amdhsa_float_denorm_mode_16_64 3
		.amdhsa_dx10_clamp 1
		.amdhsa_ieee_mode 1
		.amdhsa_fp16_overflow 0
		.amdhsa_tg_split 0
		.amdhsa_exception_fp_ieee_invalid_op 0
		.amdhsa_exception_fp_denorm_src 0
		.amdhsa_exception_fp_ieee_div_zero 0
		.amdhsa_exception_fp_ieee_overflow 0
		.amdhsa_exception_fp_ieee_underflow 0
		.amdhsa_exception_fp_ieee_inexact 0
		.amdhsa_exception_int_div_zero 0
	.end_amdhsa_kernel
	.section	.text._ZN8rajaperf4apps16intsc_hexhex_hipILm64EEEvPdS2_mS2_,"axG",@progbits,_ZN8rajaperf4apps16intsc_hexhex_hipILm64EEEvPdS2_mS2_,comdat
.Lfunc_end0:
	.size	_ZN8rajaperf4apps16intsc_hexhex_hipILm64EEEvPdS2_mS2_, .Lfunc_end0-_ZN8rajaperf4apps16intsc_hexhex_hipILm64EEEvPdS2_mS2_
                                        ; -- End function
	.section	.AMDGPU.csdata,"",@progbits
; Kernel info:
; codeLenInByte = 177100
; NumSgprs: 64
; NumVgprs: 168
; NumAgprs: 0
; TotalNumVgprs: 168
; ScratchSize: 4784
; MemoryBound: 0
; FloatMode: 240
; IeeeMode: 1
; LDSByteSize: 128 bytes/workgroup (compile time only)
; SGPRBlocks: 7
; VGPRBlocks: 20
; NumSGPRsForWavesPerEU: 64
; NumVGPRsForWavesPerEU: 168
; AccumOffset: 168
; Occupancy: 3
; WaveLimiterHint : 0
; COMPUTE_PGM_RSRC2:SCRATCH_EN: 1
; COMPUTE_PGM_RSRC2:USER_SGPR: 8
; COMPUTE_PGM_RSRC2:TRAP_HANDLER: 0
; COMPUTE_PGM_RSRC2:TGID_X_EN: 1
; COMPUTE_PGM_RSRC2:TGID_Y_EN: 0
; COMPUTE_PGM_RSRC2:TGID_Z_EN: 0
; COMPUTE_PGM_RSRC2:TIDIG_COMP_CNT: 0
; COMPUTE_PGM_RSRC3_GFX90A:ACCUM_OFFSET: 41
; COMPUTE_PGM_RSRC3_GFX90A:TG_SPLIT: 0
	.section	.text._ZN8rajaperf4apps32intsc_hexhex_hip_fixup_vv_64to72ILm64EEEvPdmS2_,"axG",@progbits,_ZN8rajaperf4apps32intsc_hexhex_hip_fixup_vv_64to72ILm64EEEvPdmS2_,comdat
	.protected	_ZN8rajaperf4apps32intsc_hexhex_hip_fixup_vv_64to72ILm64EEEvPdmS2_ ; -- Begin function _ZN8rajaperf4apps32intsc_hexhex_hip_fixup_vv_64to72ILm64EEEvPdmS2_
	.globl	_ZN8rajaperf4apps32intsc_hexhex_hip_fixup_vv_64to72ILm64EEEvPdmS2_
	.p2align	8
	.type	_ZN8rajaperf4apps32intsc_hexhex_hip_fixup_vv_64to72ILm64EEEvPdmS2_,@function
_ZN8rajaperf4apps32intsc_hexhex_hip_fixup_vv_64to72ILm64EEEvPdmS2_: ; @_ZN8rajaperf4apps32intsc_hexhex_hip_fixup_vv_64to72ILm64EEEvPdmS2_
; %bb.0:
	s_load_dwordx4 s[0:3], s[4:5], 0x0
	s_load_dwordx2 s[8:9], s[4:5], 0x10
	v_lshl_add_u32 v4, s6, 6, v0
	v_ashrrev_i32_e32 v5, 31, v4
	v_lshlrev_b64 v[0:1], 8, v[4:5]
	s_waitcnt lgkmcnt(0)
	v_mov_b32_e32 v2, s0
	v_mov_b32_e32 v3, s1
	;; [unrolled: 1-line block ×3, first 2 shown]
	v_add_co_u32_e32 v0, vcc, s8, v0
	s_movk_i32 s0, 0x240
	v_addc_co_u32_e32 v1, vcc, v6, v1, vcc
	v_mad_i64_i32 v[2:3], s[0:1], v4, s0, v[2:3]
	v_lshlrev_b64 v[4:5], 3, v[4:5]
	v_cmp_gt_u64_e32 vcc, s[2:3], v[4:5]
	s_and_saveexec_b64 s[0:1], vcc
	s_cbranch_execz .LBB1_2
; %bb.1:
	global_load_dwordx2 v[6:7], v[2:3], off
	global_load_dwordx2 v[8:9], v[2:3], off offset:64
	s_waitcnt vmcnt(0)
	v_add_f64 v[6:7], v[6:7], v[8:9]
	global_store_dwordx2 v[0:1], v[6:7], off
	global_load_dwordx2 v[6:7], v[2:3], off offset:8
	s_nop 0
	global_load_dwordx2 v[8:9], v[2:3], off offset:72
	s_waitcnt vmcnt(0)
	v_add_f64 v[6:7], v[6:7], v[8:9]
	global_store_dwordx2 v[0:1], v[6:7], off offset:8
	global_load_dwordx2 v[6:7], v[2:3], off offset:16
	s_nop 0
	global_load_dwordx2 v[8:9], v[2:3], off offset:80
	s_waitcnt vmcnt(0)
	v_add_f64 v[6:7], v[6:7], v[8:9]
	global_store_dwordx2 v[0:1], v[6:7], off offset:16
	;; [unrolled: 6-line block ×3, first 2 shown]
.LBB1_2:
	s_or_b64 exec, exec, s[0:1]
	v_or_b32_e32 v6, 1, v4
	v_mov_b32_e32 v7, v5
	v_cmp_gt_u64_e32 vcc, s[2:3], v[6:7]
	s_and_saveexec_b64 s[0:1], vcc
	s_cbranch_execz .LBB1_4
; %bb.3:
	global_load_dwordx2 v[6:7], v[2:3], off offset:96
	global_load_dwordx2 v[8:9], v[2:3], off offset:128
	s_waitcnt vmcnt(0)
	v_add_f64 v[6:7], v[6:7], v[8:9]
	global_store_dwordx2 v[0:1], v[6:7], off offset:32
	global_load_dwordx2 v[6:7], v[2:3], off offset:104
	s_nop 0
	global_load_dwordx2 v[8:9], v[2:3], off offset:136
	s_waitcnt vmcnt(0)
	v_add_f64 v[6:7], v[6:7], v[8:9]
	global_store_dwordx2 v[0:1], v[6:7], off offset:40
	global_load_dwordx2 v[6:7], v[2:3], off offset:112
	s_nop 0
	global_load_dwordx2 v[8:9], v[2:3], off offset:144
	s_waitcnt vmcnt(0)
	v_add_f64 v[6:7], v[6:7], v[8:9]
	global_store_dwordx2 v[0:1], v[6:7], off offset:48
	global_load_dwordx2 v[6:7], v[2:3], off offset:120
	s_nop 0
	global_load_dwordx2 v[8:9], v[2:3], off offset:152
	s_waitcnt vmcnt(0)
	v_add_f64 v[6:7], v[6:7], v[8:9]
	global_store_dwordx2 v[0:1], v[6:7], off offset:56
.LBB1_4:
	s_or_b64 exec, exec, s[0:1]
	v_or_b32_e32 v6, 2, v4
	v_mov_b32_e32 v7, v5
	v_cmp_gt_u64_e32 vcc, s[2:3], v[6:7]
	s_and_saveexec_b64 s[0:1], vcc
	s_cbranch_execz .LBB1_6
; %bb.5:
	global_load_dwordx2 v[6:7], v[2:3], off offset:160
	global_load_dwordx2 v[8:9], v[2:3], off offset:192
	s_waitcnt vmcnt(0)
	v_add_f64 v[6:7], v[6:7], v[8:9]
	global_store_dwordx2 v[0:1], v[6:7], off offset:64
	global_load_dwordx2 v[6:7], v[2:3], off offset:168
	s_nop 0
	global_load_dwordx2 v[8:9], v[2:3], off offset:200
	s_waitcnt vmcnt(0)
	v_add_f64 v[6:7], v[6:7], v[8:9]
	global_store_dwordx2 v[0:1], v[6:7], off offset:72
	global_load_dwordx2 v[6:7], v[2:3], off offset:176
	s_nop 0
	global_load_dwordx2 v[8:9], v[2:3], off offset:208
	s_waitcnt vmcnt(0)
	v_add_f64 v[6:7], v[6:7], v[8:9]
	global_store_dwordx2 v[0:1], v[6:7], off offset:80
	global_load_dwordx2 v[6:7], v[2:3], off offset:184
	s_nop 0
	global_load_dwordx2 v[8:9], v[2:3], off offset:216
	s_waitcnt vmcnt(0)
	v_add_f64 v[6:7], v[6:7], v[8:9]
	global_store_dwordx2 v[0:1], v[6:7], off offset:88
.LBB1_6:
	;; [unrolled: 31-line block ×6, first 2 shown]
	s_or_b64 exec, exec, s[0:1]
	v_or_b32_e32 v4, 7, v4
	v_cmp_gt_u64_e32 vcc, s[2:3], v[4:5]
	s_and_saveexec_b64 s[0:1], vcc
	s_cbranch_execz .LBB1_16
; %bb.15:
	global_load_dwordx2 v[4:5], v[2:3], off offset:480
	global_load_dwordx2 v[6:7], v[2:3], off offset:512
	s_waitcnt vmcnt(0)
	v_add_f64 v[4:5], v[4:5], v[6:7]
	global_store_dwordx2 v[0:1], v[4:5], off offset:224
	global_load_dwordx2 v[4:5], v[2:3], off offset:488
	s_nop 0
	global_load_dwordx2 v[6:7], v[2:3], off offset:520
	s_waitcnt vmcnt(0)
	v_add_f64 v[4:5], v[4:5], v[6:7]
	global_store_dwordx2 v[0:1], v[4:5], off offset:232
	global_load_dwordx2 v[4:5], v[2:3], off offset:496
	s_nop 0
	;; [unrolled: 6-line block ×3, first 2 shown]
	global_load_dwordx2 v[6:7], v[2:3], off offset:536
	s_waitcnt vmcnt(0)
	v_add_f64 v[2:3], v[4:5], v[6:7]
	global_store_dwordx2 v[0:1], v[2:3], off offset:248
.LBB1_16:
	s_endpgm
	.section	.rodata,"a",@progbits
	.p2align	6, 0x0
	.amdhsa_kernel _ZN8rajaperf4apps32intsc_hexhex_hip_fixup_vv_64to72ILm64EEEvPdmS2_
		.amdhsa_group_segment_fixed_size 0
		.amdhsa_private_segment_fixed_size 0
		.amdhsa_kernarg_size 24
		.amdhsa_user_sgpr_count 6
		.amdhsa_user_sgpr_private_segment_buffer 1
		.amdhsa_user_sgpr_dispatch_ptr 0
		.amdhsa_user_sgpr_queue_ptr 0
		.amdhsa_user_sgpr_kernarg_segment_ptr 1
		.amdhsa_user_sgpr_dispatch_id 0
		.amdhsa_user_sgpr_flat_scratch_init 0
		.amdhsa_user_sgpr_kernarg_preload_length 0
		.amdhsa_user_sgpr_kernarg_preload_offset 0
		.amdhsa_user_sgpr_private_segment_size 0
		.amdhsa_uses_dynamic_stack 0
		.amdhsa_system_sgpr_private_segment_wavefront_offset 0
		.amdhsa_system_sgpr_workgroup_id_x 1
		.amdhsa_system_sgpr_workgroup_id_y 0
		.amdhsa_system_sgpr_workgroup_id_z 0
		.amdhsa_system_sgpr_workgroup_info 0
		.amdhsa_system_vgpr_workitem_id 0
		.amdhsa_next_free_vgpr 10
		.amdhsa_next_free_sgpr 10
		.amdhsa_accum_offset 12
		.amdhsa_reserve_vcc 1
		.amdhsa_reserve_flat_scratch 0
		.amdhsa_float_round_mode_32 0
		.amdhsa_float_round_mode_16_64 0
		.amdhsa_float_denorm_mode_32 3
		.amdhsa_float_denorm_mode_16_64 3
		.amdhsa_dx10_clamp 1
		.amdhsa_ieee_mode 1
		.amdhsa_fp16_overflow 0
		.amdhsa_tg_split 0
		.amdhsa_exception_fp_ieee_invalid_op 0
		.amdhsa_exception_fp_denorm_src 0
		.amdhsa_exception_fp_ieee_div_zero 0
		.amdhsa_exception_fp_ieee_overflow 0
		.amdhsa_exception_fp_ieee_underflow 0
		.amdhsa_exception_fp_ieee_inexact 0
		.amdhsa_exception_int_div_zero 0
	.end_amdhsa_kernel
	.section	.text._ZN8rajaperf4apps32intsc_hexhex_hip_fixup_vv_64to72ILm64EEEvPdmS2_,"axG",@progbits,_ZN8rajaperf4apps32intsc_hexhex_hip_fixup_vv_64to72ILm64EEEvPdmS2_,comdat
.Lfunc_end1:
	.size	_ZN8rajaperf4apps32intsc_hexhex_hip_fixup_vv_64to72ILm64EEEvPdmS2_, .Lfunc_end1-_ZN8rajaperf4apps32intsc_hexhex_hip_fixup_vv_64to72ILm64EEEvPdmS2_
                                        ; -- End function
	.section	.AMDGPU.csdata,"",@progbits
; Kernel info:
; codeLenInByte = 1508
; NumSgprs: 14
; NumVgprs: 10
; NumAgprs: 0
; TotalNumVgprs: 10
; ScratchSize: 0
; MemoryBound: 1
; FloatMode: 240
; IeeeMode: 1
; LDSByteSize: 0 bytes/workgroup (compile time only)
; SGPRBlocks: 1
; VGPRBlocks: 1
; NumSGPRsForWavesPerEU: 14
; NumVGPRsForWavesPerEU: 10
; AccumOffset: 12
; Occupancy: 8
; WaveLimiterHint : 1
; COMPUTE_PGM_RSRC2:SCRATCH_EN: 0
; COMPUTE_PGM_RSRC2:USER_SGPR: 6
; COMPUTE_PGM_RSRC2:TRAP_HANDLER: 0
; COMPUTE_PGM_RSRC2:TGID_X_EN: 1
; COMPUTE_PGM_RSRC2:TGID_Y_EN: 0
; COMPUTE_PGM_RSRC2:TGID_Z_EN: 0
; COMPUTE_PGM_RSRC2:TIDIG_COMP_CNT: 0
; COMPUTE_PGM_RSRC3_GFX90A:ACCUM_OFFSET: 2
; COMPUTE_PGM_RSRC3_GFX90A:TG_SPLIT: 0
	.section	.text._ZN8rajaperf17lambda_hip_forallILm64EZNS_4apps12INTSC_HEXHEX17runHipVariantImplILm64EEEvNS_9VariantIDEEUllE_EEvllT0_,"axG",@progbits,_ZN8rajaperf17lambda_hip_forallILm64EZNS_4apps12INTSC_HEXHEX17runHipVariantImplILm64EEEvNS_9VariantIDEEUllE_EEvllT0_,comdat
	.protected	_ZN8rajaperf17lambda_hip_forallILm64EZNS_4apps12INTSC_HEXHEX17runHipVariantImplILm64EEEvNS_9VariantIDEEUllE_EEvllT0_ ; -- Begin function _ZN8rajaperf17lambda_hip_forallILm64EZNS_4apps12INTSC_HEXHEX17runHipVariantImplILm64EEEvNS_9VariantIDEEUllE_EEvllT0_
	.globl	_ZN8rajaperf17lambda_hip_forallILm64EZNS_4apps12INTSC_HEXHEX17runHipVariantImplILm64EEEvNS_9VariantIDEEUllE_EEvllT0_
	.p2align	8
	.type	_ZN8rajaperf17lambda_hip_forallILm64EZNS_4apps12INTSC_HEXHEX17runHipVariantImplILm64EEEvNS_9VariantIDEEUllE_EEvllT0_,@function
_ZN8rajaperf17lambda_hip_forallILm64EZNS_4apps12INTSC_HEXHEX17runHipVariantImplILm64EEEvNS_9VariantIDEEUllE_EEvllT0_: ; @_ZN8rajaperf17lambda_hip_forallILm64EZNS_4apps12INTSC_HEXHEX17runHipVariantImplILm64EEEvNS_9VariantIDEEUllE_EEvllT0_
; %bb.0:
	s_load_dwordx4 s[12:15], s[4:5], 0x0
	s_add_u32 s0, s0, s9
	s_mov_b32 s9, 0
	s_addc_u32 s1, s1, 0
	s_lshl_b64 s[6:7], s[8:9], 6
	s_waitcnt lgkmcnt(0)
	v_mov_b32_e32 v1, s13
	v_add_co_u32_e32 v2, vcc, s12, v0
	v_addc_co_u32_e32 v0, vcc, 0, v1, vcc
	v_mov_b32_e32 v1, s7
	v_add_co_u32_e32 v34, vcc, s6, v2
	v_addc_co_u32_e32 v35, vcc, v0, v1, vcc
	v_cmp_gt_i64_e32 vcc, s[14:15], v[34:35]
	s_and_saveexec_b64 s[6:7], vcc
	s_cbranch_execz .LBB2_136
; %bb.1:
	s_add_u32 s6, 0, 0x8e389f80
	s_addc_u32 s7, 0, 15
	s_add_i32 s7, s7, 0x38e38d4
	s_mul_hi_u32 s11, s6, 0xffffffb8
	s_mul_i32 s12, s7, 0xffffffb8
	s_add_i32 s11, s11, s12
	s_mul_i32 s8, s6, 0xffffffb8
	s_sub_i32 s11, s11, s6
	s_mul_hi_u32 s9, s7, s8
	s_mul_i32 s10, s7, s8
	s_mul_i32 s13, s6, s11
	s_mul_hi_u32 s8, s6, s8
	s_mul_hi_u32 s12, s6, s11
	s_add_u32 s8, s8, s13
	s_addc_u32 s12, 0, s12
	s_add_u32 s8, s8, s10
	s_mul_hi_u32 s13, s7, s11
	s_addc_u32 s8, s12, s9
	s_addc_u32 s9, s13, 0
	s_mul_i32 s10, s7, s11
	s_add_u32 s8, s8, s10
	v_mov_b32_e32 v0, s8
	s_addc_u32 s9, 0, s9
	v_add_co_u32_e32 v3, vcc, s6, v0
	v_ashrrev_i32_e32 v0, 31, v35
	v_accvgpr_write_b32 a238, v2            ;  Reload Reuse
	s_cmp_lg_u64 vcc, 0
	v_add_co_u32_e32 v2, vcc, v34, v0
	s_addc_u32 s8, s7, s9
	v_xor_b32_e32 v2, v2, v0
	v_addc_co_u32_e32 v1, vcc, v35, v0, vcc
	v_mad_u64_u32 v[4:5], s[6:7], v2, s8, 0
	v_mul_hi_u32 v6, v2, v3
	v_xor_b32_e32 v1, v1, v0
	v_add_co_u32_e32 v8, vcc, v6, v4
	v_addc_co_u32_e32 v9, vcc, 0, v5, vcc
	v_mad_u64_u32 v[6:7], s[6:7], v1, v3, 0
	v_add_co_u32_e32 v3, vcc, v8, v6
	v_mad_u64_u32 v[4:5], s[6:7], v1, s8, 0
	v_addc_co_u32_e32 v3, vcc, v9, v7, vcc
	v_addc_co_u32_e32 v5, vcc, 0, v5, vcc
	v_add_co_u32_e32 v3, vcc, v3, v4
	s_movk_i32 s8, 0x48
	v_addc_co_u32_e32 v8, vcc, 0, v5, vcc
	v_mad_u64_u32 v[4:5], s[6:7], v3, s8, 0
	v_mov_b32_e32 v6, v5
	v_mad_u64_u32 v[6:7], s[6:7], v8, s8, v[6:7]
	v_sub_co_u32_e32 v4, vcc, v2, v4
	v_subb_co_u32_e32 v5, vcc, v1, v6, vcc
	v_subrev_co_u32_e32 v6, vcc, 0x48, v4
	v_subbrev_co_u32_e32 v7, vcc, 0, v5, vcc
	s_movk_i32 s6, 0x47
	v_cmp_lt_u32_e32 vcc, s6, v6
	v_cndmask_b32_e64 v6, 0, -1, vcc
	v_cmp_eq_u32_e32 vcc, 0, v7
	v_cndmask_b32_e32 v6, -1, v6, vcc
	v_add_co_u32_e32 v7, vcc, 2, v3
	v_addc_co_u32_e32 v9, vcc, 0, v8, vcc
	v_add_co_u32_e32 v10, vcc, 1, v3
	v_cmp_lt_u32_e64 s[6:7], s6, v4
	v_addc_co_u32_e32 v11, vcc, 0, v8, vcc
	v_cndmask_b32_e64 v4, 0, -1, s[6:7]
	v_cmp_eq_u32_e64 s[6:7], 0, v5
	v_cmp_ne_u32_e32 vcc, 0, v6
	v_cndmask_b32_e64 v4, -1, v4, s[6:7]
	s_load_dwordx4 s[52:55], s[4:5], 0x10
	v_cmp_ne_u32_e64 s[6:7], 0, v4
	v_cndmask_b32_e32 v5, v10, v7, vcc
	v_cndmask_b32_e32 v6, v11, v9, vcc
	v_cndmask_b32_e64 v3, v3, v5, s[6:7]
	v_cndmask_b32_e64 v4, v8, v6, s[6:7]
	v_xor_b32_e32 v3, v3, v0
	v_xor_b32_e32 v4, v4, v0
	v_sub_co_u32_e32 v24, vcc, v3, v0
	v_subb_co_u32_e32 v25, vcc, v4, v0, vcc
	v_pk_mov_b32 v[20:21], 0, 0
	s_waitcnt lgkmcnt(0)
	v_cmp_gt_u64_e32 vcc, s[54:55], v[24:25]
	v_pk_mov_b32 v[18:19], v[20:21], v[20:21] op_sel:[0,1]
	v_pk_mov_b32 v[16:17], v[20:21], v[20:21] op_sel:[0,1]
	;; [unrolled: 1-line block ×3, first 2 shown]
	s_and_saveexec_b64 s[54:55], vcc
	s_cbranch_execz .LBB2_128
; %bb.2:
	s_mov_b32 s8, 0xaaaaaaaa
	s_mov_b32 s9, 0x2aaaaaaa
	v_mad_u64_u32 v[6:7], s[6:7], v2, s9, 0
	v_mul_hi_u32 v3, v2, s8
	v_add_co_u32_e32 v3, vcc, v3, v6
	v_mad_u64_u32 v[4:5], s[6:7], v1, s8, 0
	v_addc_co_u32_e32 v8, vcc, 0, v7, vcc
	v_add_co_u32_e32 v3, vcc, v3, v4
	v_mad_u64_u32 v[6:7], s[6:7], v1, s9, 0
	v_addc_co_u32_e32 v3, vcc, v8, v5, vcc
	v_addc_co_u32_e32 v4, vcc, 0, v7, vcc
	v_add_co_u32_e32 v3, vcc, v3, v6
	v_addc_co_u32_e32 v8, vcc, 0, v4, vcc
	v_mad_u64_u32 v[4:5], s[6:7], v3, 6, 0
	v_mov_b32_e32 v6, v5
	v_mad_u64_u32 v[6:7], s[6:7], v8, 6, v[6:7]
	v_sub_co_u32_e32 v2, vcc, v2, v4
	v_subb_co_u32_e32 v1, vcc, v1, v6, vcc
	v_subrev_co_u32_e32 v4, vcc, 6, v2
	v_subbrev_co_u32_e32 v5, vcc, 0, v1, vcc
	v_cmp_lt_u32_e32 vcc, 5, v4
	v_cndmask_b32_e64 v4, 0, -1, vcc
	v_cmp_eq_u32_e32 vcc, 0, v5
	v_cndmask_b32_e32 v4, -1, v4, vcc
	v_add_co_u32_e32 v5, vcc, 2, v3
	v_addc_co_u32_e32 v6, vcc, 0, v8, vcc
	v_add_co_u32_e32 v7, vcc, 1, v3
	v_cmp_lt_u32_e64 s[6:7], 5, v2
	v_addc_co_u32_e32 v9, vcc, 0, v8, vcc
	v_cndmask_b32_e64 v2, 0, -1, s[6:7]
	v_cmp_eq_u32_e64 s[6:7], 0, v1
	v_cmp_ne_u32_e32 vcc, 0, v4
	v_cndmask_b32_e64 v1, -1, v2, s[6:7]
	v_cndmask_b32_e32 v4, v9, v6, vcc
	v_cmp_ne_u32_e64 s[6:7], 0, v1
	v_cndmask_b32_e32 v2, v7, v5, vcc
	v_cndmask_b32_e64 v1, v8, v4, s[6:7]
	v_cndmask_b32_e64 v2, v3, v2, s[6:7]
	s_add_u32 s6, 0, 0x55540000
	s_addc_u32 s7, 0, 0x55
	s_or_b32 s9, s7, 0x15555500
	s_mul_hi_u32 s11, s6, -12
	s_mul_i32 s12, s9, -12
	s_add_i32 s11, s11, s12
	s_mul_i32 s8, s6, -12
	s_sub_i32 s11, s11, s6
	s_mul_hi_u32 s7, s9, s8
	s_mul_i32 s10, s9, s8
	s_mul_i32 s13, s6, s11
	s_mul_hi_u32 s8, s6, s8
	s_mul_hi_u32 s12, s6, s11
	s_add_u32 s8, s8, s13
	v_xor_b32_e32 v2, v2, v0
	s_addc_u32 s12, 0, s12
	v_xor_b32_e32 v1, v1, v0
	v_sub_co_u32_e32 v9, vcc, v2, v0
	s_add_u32 s8, s8, s10
	v_subb_co_u32_e32 v8, vcc, v1, v0, vcc
	s_mul_hi_u32 s13, s9, s11
	s_addc_u32 s7, s12, s7
	v_ashrrev_i32_e32 v4, 31, v8
	s_addc_u32 s8, s13, 0
	s_mul_i32 s10, s9, s11
	v_add_co_u32_e32 v0, vcc, v9, v4
	s_add_u32 s7, s7, s10
	v_addc_co_u32_e32 v1, vcc, v8, v4, vcc
	v_xor_b32_e32 v6, v0, v4
	v_mov_b32_e32 v0, s7
	s_addc_u32 s8, 0, s8
	v_add_co_u32_e32 v7, vcc, s6, v0
	s_cmp_lg_u64 vcc, 0
	v_xor_b32_e32 v5, v1, v4
	s_addc_u32 s8, s9, s8
	v_mad_u64_u32 v[0:1], s[6:7], v5, v7, 0
	v_mad_u64_u32 v[2:3], s[6:7], v6, s8, 0
	v_mul_hi_u32 v7, v6, v7
	v_add_co_u32_e32 v7, vcc, v7, v2
	v_addc_co_u32_e32 v10, vcc, 0, v3, vcc
	v_add_co_u32_e32 v0, vcc, v7, v0
	v_mad_u64_u32 v[2:3], s[6:7], v5, s8, 0
	v_addc_co_u32_e32 v0, vcc, v10, v1, vcc
	v_addc_co_u32_e32 v1, vcc, 0, v3, vcc
	v_add_co_u32_e32 v0, vcc, v0, v2
	v_addc_co_u32_e32 v3, vcc, 0, v1, vcc
	v_mad_u64_u32 v[0:1], s[6:7], v0, 12, 0
	v_mov_b32_e32 v2, v1
	v_mad_u64_u32 v[2:3], s[6:7], v3, 12, v[2:3]
	v_sub_co_u32_e32 v0, vcc, v6, v0
	v_subb_co_u32_e32 v1, vcc, v5, v2, vcc
	v_subrev_co_u32_e32 v2, vcc, 12, v0
	v_subbrev_co_u32_e32 v3, vcc, 0, v1, vcc
	v_subrev_co_u32_e32 v5, vcc, 12, v2
	v_subbrev_co_u32_e32 v6, vcc, 0, v3, vcc
	v_cmp_lt_u32_e32 vcc, 11, v2
	v_cndmask_b32_e64 v7, 0, -1, vcc
	v_cmp_eq_u32_e32 vcc, 0, v3
	v_cndmask_b32_e32 v7, -1, v7, vcc
	v_cmp_ne_u32_e32 vcc, 0, v7
	v_cmp_lt_u32_e64 s[6:7], 11, v0
	v_cndmask_b32_e32 v3, v3, v6, vcc
	v_cndmask_b32_e64 v6, 0, -1, s[6:7]
	v_cmp_eq_u32_e64 s[6:7], 0, v1
	v_cndmask_b32_e64 v6, -1, v6, s[6:7]
	v_cmp_ne_u32_e64 s[6:7], 0, v6
	v_cndmask_b32_e32 v2, v2, v5, vcc
	v_cndmask_b32_e64 v0, v0, v2, s[6:7]
	v_cndmask_b32_e64 v1, v1, v3, s[6:7]
	v_xor_b32_e32 v0, v0, v4
	v_xor_b32_e32 v1, v1, v4
	v_sub_co_u32_e32 v6, vcc, v0, v4
	v_subb_co_u32_e32 v7, vcc, v1, v4, vcc
	v_cmp_lt_i64_e32 vcc, 5, v[6:7]
                                        ; implicit-def: $sgpr8_sgpr9
                                        ; implicit-def: $vgpr4_vgpr5
                                        ; implicit-def: $vgpr2_vgpr3
	s_and_saveexec_b64 s[6:7], vcc
	s_xor_b64 s[6:7], exec, s[6:7]
; %bb.3:
	v_sub_co_u32_e32 v4, vcc, 12, v6
	v_subb_co_u32_e32 v5, vcc, 0, v7, vcc
	v_sub_co_u32_e32 v2, vcc, 11, v6
	v_subb_co_u32_e32 v3, vcc, 0, v7, vcc
	s_mov_b64 s[8:9], 7
                                        ; implicit-def: $vgpr6
; %bb.4:
	s_or_saveexec_b64 s[10:11], s[6:7]
	s_load_dwordx4 s[4:7], s[4:5], 0x20
	v_pk_mov_b32 v[0:1], s[8:9], s[8:9] op_sel:[0,1]
	s_xor_b64 exec, exec, s[10:11]
; %bb.5:
	v_add_co_u32_e32 v2, vcc, 1, v6
	v_addc_co_u32_e32 v3, vcc, 0, v7, vcc
	v_pk_mov_b32 v[0:1], 0, 0
	v_pk_mov_b32 v[4:5], v[6:7], v[6:7] op_sel:[0,1]
; %bb.6:
	s_or_b64 exec, exec, s[10:11]
	v_mad_u64_u32 v[6:7], s[8:9], v9, 6, 0
	v_lshlrev_b64 v[4:5], 2, v[4:5]
	s_getpc_b64 s[8:9]
	s_add_u32 s8, s8, __const._ZN8rajaperf14hex_intsc_subzEPKdS1_iiRdS2_S2_S2_.cyc_nod@rel32@lo+4
	s_addc_u32 s9, s9, __const._ZN8rajaperf14hex_intsc_subzEPKdS1_iiRdS2_S2_S2_.cyc_nod@rel32@hi+12
	v_mov_b32_e32 v10, v7
	v_mov_b32_e32 v7, s9
	v_add_co_u32_e32 v4, vcc, s8, v4
	v_lshlrev_b64 v[2:3], 2, v[2:3]
	v_addc_co_u32_e32 v5, vcc, v5, v7, vcc
	v_add_co_u32_e32 v2, vcc, s8, v2
	v_addc_co_u32_e32 v3, vcc, v3, v7, vcc
	global_load_dword v12, v[4:5], off
	global_load_dword v14, v[2:3], off
	v_mad_u64_u32 v[2:3], s[8:9], v8, 6, v[10:11]
	v_mov_b32_e32 v3, v2
	v_sub_co_u32_e32 v2, vcc, v34, v6
	v_accvgpr_write_b32 a240, v34           ;  Reload Reuse
	v_subb_co_u32_e32 v3, vcc, v35, v3, vcc
	v_lshlrev_b64 v[4:5], 2, v[2:3]
	s_getpc_b64 s[8:9]
	s_add_u32 s8, s8, __const._ZN8rajaperf14hex_intsc_subzEPKdS1_iiRdS2_S2_S2_.vert_cyc@rel32@lo+4
	s_addc_u32 s9, s9, __const._ZN8rajaperf14hex_intsc_subzEPKdS1_iiRdS2_S2_S2_.vert_cyc@rel32@hi+12
	v_mov_b32_e32 v6, s9
	v_add_co_u32_e32 v4, vcc, s8, v4
	v_addc_co_u32_e32 v5, vcc, v5, v6, vcc
	global_load_dword v4, v[4:5], off
	v_add_u16_e32 v2, 1, v2
	v_mov_b32_e32 v3, 43
	v_mul_lo_u16_sdwa v3, sext(v2), v3 dst_sel:DWORD dst_unused:UNUSED_PAD src0_sel:BYTE_0 src1_sel:DWORD
	v_lshrrev_b16_e32 v5, 15, v3
	v_add_u16_sdwa v3, v3, v5 dst_sel:DWORD dst_unused:UNUSED_PAD src0_sel:BYTE_1 src1_sel:DWORD
	v_mul_lo_u16_e32 v3, 6, v3
	v_sub_u16_e32 v2, v2, v3
	v_bfe_i32 v2, v2, 0, 8
	v_ashrrev_i32_e32 v3, 31, v2
	v_lshlrev_b64 v[2:3], 2, v[2:3]
	v_add_co_u32_e32 v2, vcc, s8, v2
	v_addc_co_u32_e32 v3, vcc, v3, v6, vcc
	s_waitcnt lgkmcnt(0)
	v_mov_b32_e32 v6, s6
	v_mov_b32_e32 v7, s7
	s_movk_i32 s6, 0xc0
	v_mov_b32_e32 v8, s4
	v_mov_b32_e32 v9, s5
	global_load_dword v2, v[2:3], off
	v_lshlrev_b64 v[0:1], 3, v[0:1]
	v_mul_lo_u32 v3, v25, s6
	v_mad_u64_u32 v[6:7], s[4:5], v24, s6, v[6:7]
	buffer_store_dword v24, off, s[0:3], 0 offset:2352 ; 4-byte Folded Spill
	v_mad_u64_u32 v[8:9], s[4:5], v24, s6, v[8:9]
	v_add_u32_e32 v7, v3, v7
	v_add_u32_e32 v3, v3, v9
	v_add_co_u32_e32 v0, vcc, v8, v0
	v_addc_co_u32_e32 v1, vcc, v3, v1, vcc
	v_accvgpr_write_b32 a241, v25           ;  Reload Reuse
	global_load_dwordx2 v[56:57], v[6:7], off
	global_load_dwordx4 v[52:55], v[6:7], off offset:56
	global_load_dwordx4 v[48:51], v[6:7], off offset:120
	global_load_dwordx2 v[10:11], v[6:7], off offset:184
	global_load_dwordx2 v[16:17], v[0:1], off
	global_load_dwordx2 v[18:19], v[0:1], off offset:64
	v_accvgpr_write_b32 a239, v35           ;  Reload Reuse
	v_mov_b32_e32 v46, 0xe48e0530
	v_mov_b32_e32 v47, 0x2b2bff2e
	v_mov_b32_e32 v210, -1
	s_mov_b64 s[12:13], 0
	v_mov_b32_e32 v213, -1
	v_mov_b32_e32 v214, -1
	;; [unrolled: 1-line block ×3, first 2 shown]
                                        ; implicit-def: $sgpr40_sgpr41
	s_waitcnt vmcnt(10)
	v_ashrrev_i32_e32 v13, 31, v12
	v_lshlrev_b64 v[12:13], 3, v[12:13]
	s_waitcnt vmcnt(9)
	v_ashrrev_i32_e32 v15, 31, v14
	v_add_co_u32_e32 v12, vcc, v8, v12
	v_lshlrev_b64 v[14:15], 3, v[14:15]
	v_addc_co_u32_e32 v13, vcc, v3, v13, vcc
	v_add_co_u32_e32 v8, vcc, v8, v14
	v_addc_co_u32_e32 v9, vcc, v3, v15, vcc
	global_load_dwordx2 v[20:21], v[12:13], off
	global_load_dwordx2 v[22:23], v[0:1], off offset:128
	global_load_dwordx2 v[24:25], v[12:13], off offset:64
	;; [unrolled: 1-line block ×4, first 2 shown]
	global_load_dwordx2 v[30:31], v[8:9], off
	s_waitcnt vmcnt(14)
	v_ashrrev_i32_e32 v5, 31, v4
	v_lshlrev_b64 v[0:1], 3, v[4:5]
	v_add_co_u32_e32 v0, vcc, v6, v0
	v_addc_co_u32_e32 v1, vcc, v7, v1, vcc
	global_load_dwordx2 v[32:33], v[8:9], off offset:128
	global_load_dwordx2 v[34:35], v[0:1], off
	global_load_dwordx2 v[36:37], v[0:1], off offset:64
	global_load_dwordx2 v[38:39], v[0:1], off offset:128
	v_mov_b32_e32 v4, 5
	v_mov_b32_e32 v5, 8
	s_waitcnt vmcnt(17)
	v_ashrrev_i32_e32 v3, 31, v2
	v_lshlrev_b64 v[0:1], 3, v[2:3]
	v_add_co_u32_e32 v0, vcc, v6, v0
	v_addc_co_u32_e32 v1, vcc, v7, v1, vcc
	global_load_dwordx2 v[40:41], v[0:1], off
	global_load_dwordx2 v[42:43], v[0:1], off offset:64
	global_load_dwordx2 v[44:45], v[0:1], off offset:128
	v_mov_b32_e32 v0, 2
	v_mov_b32_e32 v6, 7
	;; [unrolled: 1-line block ×6, first 2 shown]
	s_waitcnt vmcnt(17)
	v_add_f64 v[60:61], v[52:53], -v[56:57]
	s_waitcnt vmcnt(16)
	v_add_f64 v[58:59], v[48:49], -v[54:55]
	;; [unrolled: 2-line block ×3, first 2 shown]
	buffer_store_dword v0, off, s[0:3], 0 offset:44
	buffer_store_dword v1, off, s[0:3], 0 offset:40
	buffer_store_dword v2, off, s[0:3], 0 offset:52
	buffer_store_dword v3, off, s[0:3], 0 offset:60
	buffer_store_dword v4, off, s[0:3], 0 offset:56
	buffer_store_dword v5, off, s[0:3], 0 offset:68
	buffer_store_dword v6, off, s[0:3], 0 offset:64
	buffer_store_dword v7, off, s[0:3], 0 offset:84
	s_waitcnt vmcnt(21)
	v_add_f64 v[14:15], v[18:19], -v[54:55]
	v_add_f64 v[12:13], v[16:17], -v[56:57]
	v_accvgpr_write_b32 a253, v57
	v_accvgpr_write_b32 a252, v56
	s_waitcnt vmcnt(20)
	v_add_f64 v[4:5], v[20:21], -v[56:57]
	s_waitcnt vmcnt(19)
	v_add_f64 v[16:17], v[22:23], -v[50:51]
	;; [unrolled: 2-line block ×5, first 2 shown]
	v_add_f64 v[10:11], v[26:27], -v[50:51]
	s_waitcnt vmcnt(14)
	v_add_f64 v[2:3], v[32:33], -v[50:51]
	s_waitcnt vmcnt(13)
	;; [unrolled: 2-line block ×4, first 2 shown]
	v_add_f64 v[52:53], v[38:39], -v[50:51]
	v_mul_f64 v[24:25], v[52:53], v[60:61]
	v_mul_f64 v[22:23], v[62:63], v[48:49]
	v_fma_f64 v[24:25], v[64:65], v[48:49], -v[24:25]
	v_fma_f64 v[22:23], v[52:53], v[58:59], -v[22:23]
	v_mul_f64 v[28:29], v[14:15], v[24:25]
	v_mul_f64 v[30:31], v[8:9], v[24:25]
	;; [unrolled: 1-line block ×4, first 2 shown]
	v_fmac_f64_e32 v[28:29], v[12:13], v[22:23]
	v_fmac_f64_e32 v[30:31], v[4:5], v[22:23]
	;; [unrolled: 1-line block ×3, first 2 shown]
	v_pk_mov_b32 v[22:23], v[54:55], v[54:55] op_sel:[0,1]
	buffer_store_dword v20, off, s[0:3], 0 offset:2376 ; 4-byte Folded Spill
	s_nop 0
	buffer_store_dword v21, off, s[0:3], 0 offset:2380 ; 4-byte Folded Spill
	buffer_store_dword v22, off, s[0:3], 0 offset:2384 ; 4-byte Folded Spill
	;; [unrolled: 1-line block ×3, first 2 shown]
	v_mul_f64 v[18:19], v[64:65], v[58:59]
	v_pk_mov_b32 v[22:23], v[50:51], v[50:51] op_sel:[0,1]
	v_fma_f64 v[26:27], v[62:63], v[60:61], -v[18:19]
	v_fmac_f64_e32 v[28:29], v[16:17], v[26:27]
	s_waitcnt vmcnt(14)
	v_add_f64 v[56:57], v[40:41], -v[56:57]
	s_waitcnt vmcnt(13)
	v_add_f64 v[54:55], v[42:43], -v[54:55]
	;; [unrolled: 2-line block ×3, first 2 shown]
	v_mul_f64 v[24:25], v[64:65], v[54:55]
	v_mul_f64 v[18:19], v[44:45], v[18:19]
	;; [unrolled: 1-line block ×5, first 2 shown]
	v_fma_f64 v[18:19], v[24:25], v[48:49], -v[18:19]
	v_fma_f64 v[36:37], v[54:55], v[48:49], -v[36:37]
	v_fmac_f64_e32 v[30:31], v[10:11], v[26:27]
	v_fmac_f64_e32 v[32:33], v[2:3], v[26:27]
	v_mul_f64 v[26:27], v[62:63], v[56:57]
	buffer_store_dword v20, off, s[0:3], 0 offset:2360 ; 4-byte Folded Spill
	s_nop 0
	buffer_store_dword v21, off, s[0:3], 0 offset:2364 ; 4-byte Folded Spill
	buffer_store_dword v22, off, s[0:3], 0 offset:2368 ; 4-byte Folded Spill
	;; [unrolled: 1-line block ×3, first 2 shown]
	v_mul_f64 v[22:23], v[56:57], v[58:59]
	buffer_store_dword v60, off, s[0:3], 0 offset:2272 ; 4-byte Folded Spill
	s_nop 0
	buffer_store_dword v61, off, s[0:3], 0 offset:2276 ; 4-byte Folded Spill
	buffer_store_dword v58, off, s[0:3], 0 offset:2344 ; 4-byte Folded Spill
	s_nop 0
	buffer_store_dword v59, off, s[0:3], 0 offset:2348 ; 4-byte Folded Spill
	;; [unrolled: 3-line block ×3, first 2 shown]
	v_fmac_f64_e32 v[18:19], v[52:53], v[22:23]
	v_fma_f64 v[38:39], v[44:45], v[60:61], -v[38:39]
	v_fma_f64 v[40:41], v[56:57], v[58:59], -v[34:35]
	v_fma_f64 v[18:19], -v[26:27], v[48:49], v[18:19]
	v_fmac_f64_e32 v[18:19], v[44:45], v[20:21]
	v_fma_f64 v[48:49], -v[52:53], v[34:35], v[18:19]
	v_fmac_f64_e32 v[46:47], v[48:49], v[48:49]
	v_div_scale_f64 v[18:19], s[4:5], v[46:47], v[46:47], v[48:49]
	v_div_scale_f64 v[34:35], vcc, v[48:49], v[46:47], v[48:49]
	buffer_store_dword v48, off, s[0:3], 0 offset:2280 ; 4-byte Folded Spill
	s_nop 0
	buffer_store_dword v49, off, s[0:3], 0 offset:2284 ; 4-byte Folded Spill
	v_rcp_f64_e32 v[20:21], v[18:19]
	v_mul_f64 v[22:23], v[14:15], v[38:39]
	v_mul_f64 v[42:43], v[8:9], v[38:39]
	;; [unrolled: 1-line block ×3, first 2 shown]
	v_fmac_f64_e32 v[22:23], v[12:13], v[36:37]
	v_fmac_f64_e32 v[42:43], v[4:5], v[36:37]
	;; [unrolled: 1-line block ×3, first 2 shown]
	v_fma_f64 v[36:37], -v[18:19], v[20:21], 1.0
	v_fmac_f64_e32 v[20:21], v[20:21], v[36:37]
	v_fma_f64 v[36:37], -v[18:19], v[20:21], 1.0
	v_fmac_f64_e32 v[20:21], v[20:21], v[36:37]
	v_mul_f64 v[36:37], v[34:35], v[20:21]
	v_fma_f64 v[18:19], -v[18:19], v[36:37], v[34:35]
	v_div_fmas_f64 v[18:19], v[18:19], v[20:21], v[36:37]
	v_fmac_f64_e32 v[22:23], v[16:17], v[40:41]
	v_fmac_f64_e32 v[42:43], v[10:11], v[40:41]
	;; [unrolled: 1-line block ×3, first 2 shown]
	v_div_fixup_f64 v[18:19], v[18:19], v[46:47], v[48:49]
	v_mul_f64 v[20:21], v[22:23], v[18:19]
	v_accvgpr_write_b32 a245, v21
	v_accvgpr_write_b32 a244, v20
	v_fma_f64 v[20:21], -v[22:23], v[18:19], 1.0
	v_fma_f64 v[206:207], -v[28:29], v[18:19], v[20:21]
	v_mul_f64 v[20:21], v[28:29], v[18:19]
	v_accvgpr_write_b32 a247, v21
	v_mul_f64 v[22:23], v[30:31], v[18:19]
	v_accvgpr_write_b32 a246, v20
	;; [unrolled: 2-line block ×3, first 2 shown]
	v_accvgpr_write_b32 a255, v21
	v_accvgpr_write_b32 a248, v22
	v_mul_f64 v[22:23], v[38:39], v[18:19]
	v_accvgpr_write_b32 a254, v20
	v_fma_f64 v[20:21], -v[42:43], v[18:19], 1.0
	v_accvgpr_write_b32 a251, v23
	v_mul_f64 v[28:29], v[32:33], v[18:19]
	v_fma_f64 v[20:21], -v[30:31], v[18:19], v[20:21]
	v_accvgpr_write_b32 a250, v22
	v_fma_f64 v[22:23], -v[38:39], v[18:19], 1.0
	v_accvgpr_write_b32 a243, v29
	v_mov_b32_e32 v30, 0
	v_fma_f64 v[22:23], -v[32:33], v[18:19], v[22:23]
	v_accvgpr_write_b32 a242, v28
	v_mov_b32_e32 v31, 0
	v_add_u32_e32 v209, 40, v30
	v_pk_mov_b32 v[28:29], v[206:207], v[206:207] op_sel:[0,1]
	buffer_store_dword v207, off, s[0:3], 0 offset:4
	buffer_store_dword v206, off, s[0:3], 0
	buffer_store_dword v21, off, s[0:3], 0 offset:12
	buffer_store_dword v20, off, s[0:3], 0 offset:8
	;; [unrolled: 1-line block ×6, first 2 shown]
.LBB2_7:                                ; =>This Inner Loop Header: Depth=1
	v_lshl_add_u32 v32, v31, 2, v209
	buffer_load_dword v34, v32, s[0:3], 0 offen
	v_cmp_le_f64_e32 vcc, 0, v[28:29]
	v_cmp_gt_f64_e64 s[4:5], 0, v[28:29]
	s_waitcnt vmcnt(0)
	v_max_i32_e32 v35, 0, v34
	v_lshl_add_u32 v36, v35, 3, v30
	buffer_load_dword v32, v36, s[0:3], 0 offen
	buffer_load_dword v33, v36, s[0:3], 0 offen offset:4
	v_cmp_gt_i32_e64 s[6:7], 0, v34
	s_waitcnt vmcnt(0)
	v_cmp_gt_f64_e64 s[8:9], 0, v[32:33]
	v_cmp_le_f64_e64 s[10:11], 0, v[32:33]
	s_and_b64 vcc, vcc, s[8:9]
	s_and_b64 s[8:9], s[4:5], s[10:11]
	s_or_b64 s[12:13], s[6:7], s[12:13]
	s_andn2_b64 s[6:7], s[40:41], exec
	s_and_b64 s[4:5], s[4:5], exec
	v_pk_mov_b32 v[28:29], v[32:33], v[32:33] op_sel:[0,1]
	v_cndmask_b32_e32 v214, v214, v35, vcc
	v_cndmask_b32_e64 v211, v211, v35, s[8:9]
	v_cndmask_b32_e32 v210, v210, v31, vcc
	v_cndmask_b32_e64 v213, v213, v31, s[8:9]
	v_mov_b32_e32 v31, v34
	s_or_b64 s[40:41], s[6:7], s[4:5]
	s_andn2_b64 exec, exec, s[12:13]
	s_cbranch_execnz .LBB2_7
; %bb.8:
	s_or_b64 exec, exec, s[12:13]
	buffer_store_dword v54, off, s[0:3], 0 offset:2304 ; 4-byte Folded Spill
	s_nop 0
	buffer_store_dword v55, off, s[0:3], 0 offset:2308 ; 4-byte Folded Spill
	buffer_store_dword v62, off, s[0:3], 0 offset:2312 ; 4-byte Folded Spill
	s_nop 0
	buffer_store_dword v63, off, s[0:3], 0 offset:2316 ; 4-byte Folded Spill
	v_add_f64 v[24:25], v[24:25], -v[26:27]
	v_cmp_lt_i32_e64 s[4:5], -1, v210
	v_mov_b32_e32 v212, -1
	v_mov_b32_e32 v215, -1
	;; [unrolled: 1-line block ×3, first 2 shown]
	v_mul_f64 v[28:29], v[52:53], v[54:55]
	v_fma_f64 v[28:29], v[62:63], v[44:45], -v[28:29]
	buffer_store_dword v44, off, s[0:3], 0 offset:2288 ; 4-byte Folded Spill
	s_nop 0
	buffer_store_dword v45, off, s[0:3], 0 offset:2292 ; 4-byte Folded Spill
	buffer_store_dword v64, off, s[0:3], 0 offset:2328 ; 4-byte Folded Spill
	s_nop 0
	buffer_store_dword v65, off, s[0:3], 0 offset:2332 ; 4-byte Folded Spill
	;; [unrolled: 3-line block ×4, first 2 shown]
	v_mul_f64 v[30:31], v[64:65], v[44:45]
	v_fma_f64 v[30:31], v[52:53], v[56:57], -v[30:31]
	v_mul_f64 v[8:9], v[8:9], v[30:31]
	v_mul_f64 v[14:15], v[14:15], v[30:31]
	v_fmac_f64_e32 v[8:9], v[4:5], v[28:29]
	v_mul_f64 v[4:5], v[6:7], v[30:31]
	v_fmac_f64_e32 v[14:15], v[12:13], v[28:29]
	v_fmac_f64_e32 v[4:5], v[0:1], v[28:29]
	;; [unrolled: 1-line block ×5, first 2 shown]
	v_mul_f64 v[250:251], v[14:15], v[18:19]
	v_mul_f64 v[252:253], v[8:9], v[18:19]
	;; [unrolled: 1-line block ×3, first 2 shown]
	v_fma_f64 v[248:249], -v[14:15], v[18:19], v[206:207]
	v_fma_f64 v[32:33], -v[8:9], v[18:19], v[20:21]
	;; [unrolled: 1-line block ×3, first 2 shown]
	s_mov_b64 s[42:43], exec
                                        ; implicit-def: $vgpr34_vgpr35_vgpr36_vgpr37_vgpr38_vgpr39_vgpr40_vgpr41_vgpr42_vgpr43_vgpr44_vgpr45_vgpr46_vgpr47_vgpr48_vgpr49_vgpr50_vgpr51_vgpr52_vgpr53_vgpr54_vgpr55_vgpr56_vgpr57_vgpr58_vgpr59_vgpr60_vgpr61_vgpr62_vgpr63_vgpr64_vgpr65
                                        ; kill: killed $vgpr34_vgpr35_vgpr36_vgpr37_vgpr38_vgpr39_vgpr40_vgpr41_vgpr42_vgpr43_vgpr44_vgpr45_vgpr46_vgpr47_vgpr48_vgpr49_vgpr50_vgpr51_vgpr52_vgpr53_vgpr54_vgpr55_vgpr56_vgpr57_vgpr58_vgpr59_vgpr60_vgpr61_vgpr62_vgpr63_vgpr64_vgpr65
                                        ; implicit-def: $vgpr92_vgpr93_vgpr94_vgpr95_vgpr96_vgpr97_vgpr98_vgpr99_vgpr100_vgpr101_vgpr102_vgpr103_vgpr104_vgpr105_vgpr106_vgpr107_vgpr108_vgpr109_vgpr110_vgpr111_vgpr112_vgpr113_vgpr114_vgpr115_vgpr116_vgpr117_vgpr118_vgpr119_vgpr120_vgpr121_vgpr122_vgpr123
                                        ; implicit-def: $agpr58_agpr59_agpr60_agpr61_agpr62_agpr63_agpr64_agpr65_agpr66_agpr67_agpr68_agpr69_agpr70_agpr71_agpr72_agpr73_agpr74_agpr75_agpr76_agpr77_agpr78_agpr79_agpr80_agpr81_agpr82_agpr83_agpr84_agpr85_agpr86_agpr87_agpr88_agpr89
                                        ; implicit-def: $agpr0_agpr1_agpr2_agpr3_agpr4_agpr5_agpr6_agpr7_agpr8_agpr9_agpr10_agpr11_agpr12_agpr13_agpr14_agpr15_agpr16_agpr17_agpr18_agpr19_agpr20_agpr21_agpr22_agpr23_agpr24_agpr25_agpr26_agpr27_agpr28_agpr29_agpr30_agpr31
                                        ; implicit-def: $agpr174_agpr175_agpr176_agpr177_agpr178_agpr179_agpr180_agpr181_agpr182_agpr183_agpr184_agpr185_agpr186_agpr187_agpr188_agpr189_agpr190_agpr191_agpr192_agpr193_agpr194_agpr195_agpr196_agpr197_agpr198_agpr199_agpr200_agpr201_agpr202_agpr203_agpr204_agpr205
                                        ; implicit-def: $agpr128_agpr129_agpr130_agpr131_agpr132_agpr133_agpr134_agpr135_agpr136_agpr137_agpr138_agpr139_agpr140_agpr141_agpr142_agpr143_agpr144_agpr145_agpr146_agpr147_agpr148_agpr149_agpr150_agpr151_agpr152_agpr153_agpr154_agpr155_agpr156_agpr157_agpr158_agpr159
	s_and_b64 s[6:7], s[42:43], s[4:5]
                                        ; implicit-def: $vgpr34_vgpr35_vgpr36_vgpr37_vgpr38_vgpr39_vgpr40_vgpr41_vgpr42_vgpr43_vgpr44_vgpr45_vgpr46_vgpr47_vgpr48_vgpr49_vgpr50_vgpr51_vgpr52_vgpr53_vgpr54_vgpr55_vgpr56_vgpr57_vgpr58_vgpr59_vgpr60_vgpr61_vgpr62_vgpr63_vgpr64_vgpr65
                                        ; kill: killed $vgpr34_vgpr35_vgpr36_vgpr37_vgpr38_vgpr39_vgpr40_vgpr41_vgpr42_vgpr43_vgpr44_vgpr45_vgpr46_vgpr47_vgpr48_vgpr49_vgpr50_vgpr51_vgpr52_vgpr53_vgpr54_vgpr55_vgpr56_vgpr57_vgpr58_vgpr59_vgpr60_vgpr61_vgpr62_vgpr63_vgpr64_vgpr65
                                        ; implicit-def: $vgpr66_vgpr67_vgpr68_vgpr69_vgpr70_vgpr71_vgpr72_vgpr73_vgpr74_vgpr75_vgpr76_vgpr77_vgpr78_vgpr79_vgpr80_vgpr81_vgpr82_vgpr83_vgpr84_vgpr85_vgpr86_vgpr87_vgpr88_vgpr89_vgpr90_vgpr91_vgpr92_vgpr93_vgpr94_vgpr95_vgpr96_vgpr97
                                        ; implicit-def: $agpr42_agpr43_agpr44_agpr45_agpr46_agpr47_agpr48_agpr49_agpr50_agpr51_agpr52_agpr53_agpr54_agpr55_agpr56_agpr57_agpr58_agpr59_agpr60_agpr61_agpr62_agpr63_agpr64_agpr65_agpr66_agpr67_agpr68_agpr69_agpr70_agpr71_agpr72_agpr73
                                        ; implicit-def: $agpr76_agpr77_agpr78_agpr79_agpr80_agpr81_agpr82_agpr83_agpr84_agpr85_agpr86_agpr87_agpr88_agpr89_agpr90_agpr91_agpr92_agpr93_agpr94_agpr95_agpr96_agpr97_agpr98_agpr99_agpr100_agpr101_agpr102_agpr103_agpr104_agpr105_agpr106_agpr107
                                        ; implicit-def: $vgpr156_vgpr157_vgpr158_vgpr159_vgpr160_vgpr161_vgpr162_vgpr163_vgpr164_vgpr165_vgpr166_vgpr167_vgpr168_vgpr169_vgpr170_vgpr171_vgpr172_vgpr173_vgpr174_vgpr175_vgpr176_vgpr177_vgpr178_vgpr179_vgpr180_vgpr181_vgpr182_vgpr183_vgpr184_vgpr185_vgpr186_vgpr187
                                        ; implicit-def: $vgpr124_vgpr125_vgpr126_vgpr127_vgpr128_vgpr129_vgpr130_vgpr131_vgpr132_vgpr133_vgpr134_vgpr135_vgpr136_vgpr137_vgpr138_vgpr139_vgpr140_vgpr141_vgpr142_vgpr143_vgpr144_vgpr145_vgpr146_vgpr147_vgpr148_vgpr149_vgpr150_vgpr151_vgpr152_vgpr153_vgpr154_vgpr155
                                        ; implicit-def: $agpr142_agpr143_agpr144_agpr145_agpr146_agpr147_agpr148_agpr149_agpr150_agpr151_agpr152_agpr153_agpr154_agpr155_agpr156_agpr157_agpr158_agpr159_agpr160_agpr161_agpr162_agpr163_agpr164_agpr165_agpr166_agpr167_agpr168_agpr169_agpr170_agpr171_agpr172_agpr173
                                        ; implicit-def: $agpr188_agpr189_agpr190_agpr191_agpr192_agpr193_agpr194_agpr195_agpr196_agpr197_agpr198_agpr199_agpr200_agpr201_agpr202_agpr203_agpr204_agpr205_agpr206_agpr207_agpr208_agpr209_agpr210_agpr211_agpr212_agpr213_agpr214_agpr215_agpr216_agpr217_agpr218_agpr219
                                        ; implicit-def: $vgpr0_vgpr1_vgpr2_vgpr3_vgpr4_vgpr5_vgpr6_vgpr7_vgpr8_vgpr9_vgpr10_vgpr11_vgpr12_vgpr13_vgpr14_vgpr15_vgpr16_vgpr17_vgpr18_vgpr19_vgpr20_vgpr21_vgpr22_vgpr23_vgpr24_vgpr25_vgpr26_vgpr27_vgpr28_vgpr29_vgpr30_vgpr31
                                        ; implicit-def: $vgpr172_vgpr173_vgpr174_vgpr175_vgpr176_vgpr177_vgpr178_vgpr179_vgpr180_vgpr181_vgpr182_vgpr183_vgpr184_vgpr185_vgpr186_vgpr187_vgpr188_vgpr189_vgpr190_vgpr191_vgpr192_vgpr193_vgpr194_vgpr195_vgpr196_vgpr197_vgpr198_vgpr199_vgpr200_vgpr201_vgpr202_vgpr203
                                        ; implicit-def: $vgpr34_vgpr35_vgpr36_vgpr37_vgpr38_vgpr39_vgpr40_vgpr41_vgpr42_vgpr43_vgpr44_vgpr45_vgpr46_vgpr47_vgpr48_vgpr49_vgpr50_vgpr51_vgpr52_vgpr53_vgpr54_vgpr55_vgpr56_vgpr57_vgpr58_vgpr59_vgpr60_vgpr61_vgpr62_vgpr63_vgpr64_vgpr65
                                        ; kill: killed $vgpr34_vgpr35_vgpr36_vgpr37_vgpr38_vgpr39_vgpr40_vgpr41_vgpr42_vgpr43_vgpr44_vgpr45_vgpr46_vgpr47_vgpr48_vgpr49_vgpr50_vgpr51_vgpr52_vgpr53_vgpr54_vgpr55_vgpr56_vgpr57_vgpr58_vgpr59_vgpr60_vgpr61_vgpr62_vgpr63_vgpr64_vgpr65
                                        ; implicit-def: $agpr14_agpr15_agpr16_agpr17_agpr18_agpr19_agpr20_agpr21_agpr22_agpr23_agpr24_agpr25_agpr26_agpr27_agpr28_agpr29_agpr30_agpr31_agpr32_agpr33_agpr34_agpr35_agpr36_agpr37_agpr38_agpr39_agpr40_agpr41_agpr42_agpr43_agpr44_agpr45
                                        ; implicit-def: $agpr92_agpr93_agpr94_agpr95_agpr96_agpr97_agpr98_agpr99_agpr100_agpr101_agpr102_agpr103_agpr104_agpr105_agpr106_agpr107_agpr108_agpr109_agpr110_agpr111_agpr112_agpr113_agpr114_agpr115_agpr116_agpr117_agpr118_agpr119_agpr120_agpr121_agpr122_agpr123
                                        ; implicit-def: $vgpr216_vgpr217_vgpr218_vgpr219_vgpr220_vgpr221_vgpr222_vgpr223_vgpr224_vgpr225_vgpr226_vgpr227_vgpr228_vgpr229_vgpr230_vgpr231_vgpr232_vgpr233_vgpr234_vgpr235_vgpr236_vgpr237_vgpr238_vgpr239_vgpr240_vgpr241_vgpr242_vgpr243_vgpr244_vgpr245_vgpr246_vgpr247
                                        ; implicit-def: $vgpr134_vgpr135_vgpr136_vgpr137_vgpr138_vgpr139_vgpr140_vgpr141_vgpr142_vgpr143_vgpr144_vgpr145_vgpr146_vgpr147_vgpr148_vgpr149_vgpr150_vgpr151_vgpr152_vgpr153_vgpr154_vgpr155_vgpr156_vgpr157_vgpr158_vgpr159_vgpr160_vgpr161_vgpr162_vgpr163_vgpr164_vgpr165
                                        ; implicit-def: $vgpr100_vgpr101_vgpr102_vgpr103_vgpr104_vgpr105_vgpr106_vgpr107_vgpr108_vgpr109_vgpr110_vgpr111_vgpr112_vgpr113_vgpr114_vgpr115_vgpr116_vgpr117_vgpr118_vgpr119_vgpr120_vgpr121_vgpr122_vgpr123_vgpr124_vgpr125_vgpr126_vgpr127_vgpr128_vgpr129_vgpr130_vgpr131
                                        ; implicit-def: $agpr154_agpr155_agpr156_agpr157_agpr158_agpr159_agpr160_agpr161_agpr162_agpr163_agpr164_agpr165_agpr166_agpr167_agpr168_agpr169_agpr170_agpr171_agpr172_agpr173_agpr174_agpr175_agpr176_agpr177_agpr178_agpr179_agpr180_agpr181_agpr182_agpr183_agpr184_agpr185
                                        ; implicit-def: $agpr206_agpr207_agpr208_agpr209_agpr210_agpr211_agpr212_agpr213_agpr214_agpr215_agpr216_agpr217_agpr218_agpr219_agpr220_agpr221_agpr222_agpr223_agpr224_agpr225_agpr226_agpr227_agpr228_agpr229_agpr230_agpr231_agpr232_agpr233_agpr234_agpr235_agpr236_agpr237
                                        ; implicit-def: $vgpr34_vgpr35_vgpr36_vgpr37_vgpr38_vgpr39_vgpr40_vgpr41_vgpr42_vgpr43_vgpr44_vgpr45_vgpr46_vgpr47_vgpr48_vgpr49_vgpr50_vgpr51_vgpr52_vgpr53_vgpr54_vgpr55_vgpr56_vgpr57_vgpr58_vgpr59_vgpr60_vgpr61_vgpr62_vgpr63_vgpr64_vgpr65
                                        ; kill: killed $vgpr34_vgpr35_vgpr36_vgpr37_vgpr38_vgpr39_vgpr40_vgpr41_vgpr42_vgpr43_vgpr44_vgpr45_vgpr46_vgpr47_vgpr48_vgpr49_vgpr50_vgpr51_vgpr52_vgpr53_vgpr54_vgpr55_vgpr56_vgpr57_vgpr58_vgpr59_vgpr60_vgpr61_vgpr62_vgpr63_vgpr64_vgpr65
                                        ; implicit-def: $agpr26_agpr27_agpr28_agpr29_agpr30_agpr31_agpr32_agpr33_agpr34_agpr35_agpr36_agpr37_agpr38_agpr39_agpr40_agpr41_agpr42_agpr43_agpr44_agpr45_agpr46_agpr47_agpr48_agpr49_agpr50_agpr51_agpr52_agpr53_agpr54_agpr55_agpr56_agpr57
                                        ; implicit-def: $agpr104_agpr105_agpr106_agpr107_agpr108_agpr109_agpr110_agpr111_agpr112_agpr113_agpr114_agpr115_agpr116_agpr117_agpr118_agpr119_agpr120_agpr121_agpr122_agpr123_agpr124_agpr125_agpr126_agpr127_agpr128_agpr129_agpr130_agpr131_agpr132_agpr133_agpr134_agpr135
                                        ; kill: killed $agpr26_agpr27_agpr28_agpr29_agpr30_agpr31_agpr32_agpr33_agpr34_agpr35_agpr36_agpr37_agpr38_agpr39_agpr40_agpr41_agpr42_agpr43_agpr44_agpr45_agpr46_agpr47_agpr48_agpr49_agpr50_agpr51_agpr52_agpr53_agpr54_agpr55_agpr56_agpr57
                                        ; implicit-def: $vgpr34_vgpr35_vgpr36_vgpr37_vgpr38_vgpr39_vgpr40_vgpr41_vgpr42_vgpr43_vgpr44_vgpr45_vgpr46_vgpr47_vgpr48_vgpr49_vgpr50_vgpr51_vgpr52_vgpr53_vgpr54_vgpr55_vgpr56_vgpr57_vgpr58_vgpr59_vgpr60_vgpr61_vgpr62_vgpr63_vgpr64_vgpr65
                                        ; implicit-def: $agpr26_agpr27_agpr28_agpr29_agpr30_agpr31_agpr32_agpr33_agpr34_agpr35_agpr36_agpr37_agpr38_agpr39_agpr40_agpr41_agpr42_agpr43_agpr44_agpr45_agpr46_agpr47_agpr48_agpr49_agpr50_agpr51_agpr52_agpr53_agpr54_agpr55_agpr56_agpr57
                                        ; kill: killed $agpr26_agpr27_agpr28_agpr29_agpr30_agpr31_agpr32_agpr33_agpr34_agpr35_agpr36_agpr37_agpr38_agpr39_agpr40_agpr41_agpr42_agpr43_agpr44_agpr45_agpr46_agpr47_agpr48_agpr49_agpr50_agpr51_agpr52_agpr53_agpr54_agpr55_agpr56_agpr57
                                        ; implicit-def: $vgpr42_vgpr43_vgpr44_vgpr45_vgpr46_vgpr47_vgpr48_vgpr49_vgpr50_vgpr51_vgpr52_vgpr53_vgpr54_vgpr55_vgpr56_vgpr57_vgpr58_vgpr59_vgpr60_vgpr61_vgpr62_vgpr63_vgpr64_vgpr65_vgpr66_vgpr67_vgpr68_vgpr69_vgpr70_vgpr71_vgpr72_vgpr73
                                        ; kill: killed $vgpr42_vgpr43_vgpr44_vgpr45_vgpr46_vgpr47_vgpr48_vgpr49_vgpr50_vgpr51_vgpr52_vgpr53_vgpr54_vgpr55_vgpr56_vgpr57_vgpr58_vgpr59_vgpr60_vgpr61_vgpr62_vgpr63_vgpr64_vgpr65_vgpr66_vgpr67_vgpr68_vgpr69_vgpr70_vgpr71_vgpr72_vgpr73
                                        ; implicit-def: $vgpr42_vgpr43_vgpr44_vgpr45_vgpr46_vgpr47_vgpr48_vgpr49_vgpr50_vgpr51_vgpr52_vgpr53_vgpr54_vgpr55_vgpr56_vgpr57_vgpr58_vgpr59_vgpr60_vgpr61_vgpr62_vgpr63_vgpr64_vgpr65_vgpr66_vgpr67_vgpr68_vgpr69_vgpr70_vgpr71_vgpr72_vgpr73
                                        ; kill: killed $vgpr42_vgpr43_vgpr44_vgpr45_vgpr46_vgpr47_vgpr48_vgpr49_vgpr50_vgpr51_vgpr52_vgpr53_vgpr54_vgpr55_vgpr56_vgpr57_vgpr58_vgpr59_vgpr60_vgpr61_vgpr62_vgpr63_vgpr64_vgpr65_vgpr66_vgpr67_vgpr68_vgpr69_vgpr70_vgpr71_vgpr72_vgpr73
	;; [unrolled: 2-line block ×11, first 2 shown]
	s_mov_b64 exec, s[6:7]
	s_cbranch_execz .LBB2_10
; %bb.9:
	v_mov_b32_e32 v4, 0
	v_lshl_add_u32 v5, v214, 3, v4
	v_lshl_add_u32 v6, v210, 3, v4
	buffer_load_dword v0, v5, s[0:3], 0 offen
	buffer_load_dword v1, v5, s[0:3], 0 offen offset:4
	buffer_load_dword v2, v6, s[0:3], 0 offen
	buffer_load_dword v3, v6, s[0:3], 0 offen offset:4
	v_accvgpr_read_b32 v26, a254
	v_accvgpr_read_b32 v28, a244
	v_cmp_eq_u32_e64 s[6:7], 1, v210
	v_accvgpr_read_b32 v27, a255
	v_accvgpr_read_b32 v29, a245
	v_cmp_eq_u32_e64 s[8:9], 1, v214
	v_accvgpr_read_b32 v24, a250
	v_cndmask_b32_e64 v5, v29, v27, s[6:7]
	v_cndmask_b32_e64 v6, v29, v27, s[8:9]
	v_cmp_eq_u32_e64 s[12:13], 2, v210
	v_accvgpr_read_b32 v25, a251
	v_cmp_eq_u32_e64 s[10:11], 2, v214
	v_cndmask_b32_e64 v5, v5, v25, s[12:13]
	v_cndmask_b32_e64 v7, v28, v26, s[6:7]
	v_cndmask_b32_e64 v6, v6, v25, s[10:11]
	v_lshl_add_u32 v12, v213, 3, v4
	v_cmp_eq_u32_e64 s[16:17], 3, v210
	v_cmp_eq_u32_e64 s[14:15], 3, v214
	v_lshl_add_u32 v13, v211, 3, v4
	v_cndmask_b32_e64 v15, v7, v24, s[12:13]
	v_accvgpr_read_b32 v34, a248
	v_accvgpr_read_b32 v36, a246
	;; [unrolled: 1-line block ×5, first 2 shown]
	v_cndmask_b32_e64 v8, v28, v26, s[8:9]
	v_cndmask_b32_e64 v9, v37, v35, s[6:7]
	v_accvgpr_read_b32 v31, a243
	v_cndmask_b32_e64 v10, v36, v34, s[6:7]
	v_cndmask_b32_e64 v11, v37, v35, s[8:9]
	;; [unrolled: 1-line block ×4, first 2 shown]
	v_cmp_eq_u32_e64 s[22:23], 4, v210
	v_cmp_eq_u32_e64 s[18:19], 4, v214
	v_cndmask_b32_e64 v10, v10, v30, s[12:13]
	v_cndmask_b32_e64 v11, v11, v31, s[10:11]
	v_cmp_eq_u32_e64 s[26:27], 5, v210
	v_cmp_eq_u32_e64 s[20:21], 5, v214
	;; [unrolled: 1-line block ×8, first 2 shown]
                                        ; implicit-def: $vgpr42_vgpr43_vgpr44_vgpr45_vgpr46_vgpr47_vgpr48_vgpr49_vgpr50_vgpr51_vgpr52_vgpr53_vgpr54_vgpr55_vgpr56_vgpr57_vgpr58_vgpr59_vgpr60_vgpr61_vgpr62_vgpr63_vgpr64_vgpr65_vgpr66_vgpr67_vgpr68_vgpr69_vgpr70_vgpr71_vgpr72_vgpr73
                                        ; kill: killed $vgpr42_vgpr43_vgpr44_vgpr45_vgpr46_vgpr47_vgpr48_vgpr49_vgpr50_vgpr51_vgpr52_vgpr53_vgpr54_vgpr55_vgpr56_vgpr57_vgpr58_vgpr59_vgpr60_vgpr61_vgpr62_vgpr63_vgpr64_vgpr65_vgpr66_vgpr67_vgpr68_vgpr69_vgpr70_vgpr71_vgpr72_vgpr73
                                        ; implicit-def: $vgpr42_vgpr43_vgpr44_vgpr45_vgpr46_vgpr47_vgpr48_vgpr49_vgpr50_vgpr51_vgpr52_vgpr53_vgpr54_vgpr55_vgpr56_vgpr57_vgpr58_vgpr59_vgpr60_vgpr61_vgpr62_vgpr63_vgpr64_vgpr65_vgpr66_vgpr67_vgpr68_vgpr69_vgpr70_vgpr71_vgpr72_vgpr73
                                        ; kill: killed $vgpr42_vgpr43_vgpr44_vgpr45_vgpr46_vgpr47_vgpr48_vgpr49_vgpr50_vgpr51_vgpr52_vgpr53_vgpr54_vgpr55_vgpr56_vgpr57_vgpr58_vgpr59_vgpr60_vgpr61_vgpr62_vgpr63_vgpr64_vgpr65_vgpr66_vgpr67_vgpr68_vgpr69_vgpr70_vgpr71_vgpr72_vgpr73
	;; [unrolled: 2-line block ×8, first 2 shown]
                                        ; implicit-def: $vgpr42_vgpr43_vgpr44_vgpr45_vgpr46_vgpr47_vgpr48_vgpr49_vgpr50_vgpr51_vgpr52_vgpr53_vgpr54_vgpr55_vgpr56_vgpr57_vgpr58_vgpr59_vgpr60_vgpr61_vgpr62_vgpr63_vgpr64_vgpr65_vgpr66_vgpr67_vgpr68_vgpr69_vgpr70_vgpr71_vgpr72_vgpr73
                                        ; implicit-def: $agpr58_agpr59_agpr60_agpr61_agpr62_agpr63_agpr64_agpr65_agpr66_agpr67_agpr68_agpr69_agpr70_agpr71_agpr72_agpr73_agpr74_agpr75_agpr76_agpr77_agpr78_agpr79_agpr80_agpr81_agpr82_agpr83_agpr84_agpr85_agpr86_agpr87_agpr88_agpr89
                                        ; kill: killed $vgpr42_vgpr43_vgpr44_vgpr45_vgpr46_vgpr47_vgpr48_vgpr49_vgpr50_vgpr51_vgpr52_vgpr53_vgpr54_vgpr55_vgpr56_vgpr57_vgpr58_vgpr59_vgpr60_vgpr61_vgpr62_vgpr63_vgpr64_vgpr65_vgpr66_vgpr67_vgpr68_vgpr69_vgpr70_vgpr71_vgpr72_vgpr73
                                        ; implicit-def: $vgpr42_vgpr43_vgpr44_vgpr45_vgpr46_vgpr47_vgpr48_vgpr49_vgpr50_vgpr51_vgpr52_vgpr53_vgpr54_vgpr55_vgpr56_vgpr57_vgpr58_vgpr59_vgpr60_vgpr61_vgpr62_vgpr63_vgpr64_vgpr65_vgpr66_vgpr67_vgpr68_vgpr69_vgpr70_vgpr71_vgpr72_vgpr73
                                        ; implicit-def: $agpr76_agpr77_agpr78_agpr79_agpr80_agpr81_agpr82_agpr83_agpr84_agpr85_agpr86_agpr87_agpr88_agpr89_agpr90_agpr91_agpr92_agpr93_agpr94_agpr95_agpr96_agpr97_agpr98_agpr99_agpr100_agpr101_agpr102_agpr103_agpr104_agpr105_agpr106_agpr107
                                        ; implicit-def: $agpr174_agpr175_agpr176_agpr177_agpr178_agpr179_agpr180_agpr181_agpr182_agpr183_agpr184_agpr185_agpr186_agpr187_agpr188_agpr189_agpr190_agpr191_agpr192_agpr193_agpr194_agpr195_agpr196_agpr197_agpr198_agpr199_agpr200_agpr201_agpr202_agpr203_agpr204_agpr205
                                        ; implicit-def: $agpr128_agpr129_agpr130_agpr131_agpr132_agpr133_agpr134_agpr135_agpr136_agpr137_agpr138_agpr139_agpr140_agpr141_agpr142_agpr143_agpr144_agpr145_agpr146_agpr147_agpr148_agpr149_agpr150_agpr151_agpr152_agpr153_agpr154_agpr155_agpr156_agpr157_agpr158_agpr159
                                        ; kill: killed $vgpr42_vgpr43_vgpr44_vgpr45_vgpr46_vgpr47_vgpr48_vgpr49_vgpr50_vgpr51_vgpr52_vgpr53_vgpr54_vgpr55_vgpr56_vgpr57_vgpr58_vgpr59_vgpr60_vgpr61_vgpr62_vgpr63_vgpr64_vgpr65_vgpr66_vgpr67_vgpr68_vgpr69_vgpr70_vgpr71_vgpr72_vgpr73
                                        ; implicit-def: $vgpr42_vgpr43_vgpr44_vgpr45_vgpr46_vgpr47_vgpr48_vgpr49_vgpr50_vgpr51_vgpr52_vgpr53_vgpr54_vgpr55_vgpr56_vgpr57_vgpr58_vgpr59_vgpr60_vgpr61_vgpr62_vgpr63_vgpr64_vgpr65_vgpr66_vgpr67_vgpr68_vgpr69_vgpr70_vgpr71_vgpr72_vgpr73
	v_mov_b32_e32 v215, 3
	v_mov_b32_e32 v208, 4
                                        ; implicit-def: $vgpr156_vgpr157_vgpr158_vgpr159_vgpr160_vgpr161_vgpr162_vgpr163_vgpr164_vgpr165_vgpr166_vgpr167_vgpr168_vgpr169_vgpr170_vgpr171_vgpr172_vgpr173_vgpr174_vgpr175_vgpr176_vgpr177_vgpr178_vgpr179_vgpr180_vgpr181_vgpr182_vgpr183_vgpr184_vgpr185_vgpr186_vgpr187
                                        ; implicit-def: $agpr92_agpr93_agpr94_agpr95_agpr96_agpr97_agpr98_agpr99_agpr100_agpr101_agpr102_agpr103_agpr104_agpr105_agpr106_agpr107_agpr108_agpr109_agpr110_agpr111_agpr112_agpr113_agpr114_agpr115_agpr116_agpr117_agpr118_agpr119_agpr120_agpr121_agpr122_agpr123
                                        ; implicit-def: $agpr142_agpr143_agpr144_agpr145_agpr146_agpr147_agpr148_agpr149_agpr150_agpr151_agpr152_agpr153_agpr154_agpr155_agpr156_agpr157_agpr158_agpr159_agpr160_agpr161_agpr162_agpr163_agpr164_agpr165_agpr166_agpr167_agpr168_agpr169_agpr170_agpr171_agpr172_agpr173
                                        ; implicit-def: $agpr42_agpr43_agpr44_agpr45_agpr46_agpr47_agpr48_agpr49_agpr50_agpr51_agpr52_agpr53_agpr54_agpr55_agpr56_agpr57_agpr58_agpr59_agpr60_agpr61_agpr62_agpr63_agpr64_agpr65_agpr66_agpr67_agpr68_agpr69_agpr70_agpr71_agpr72_agpr73
                                        ; implicit-def: $agpr0_agpr1_agpr2_agpr3_agpr4_agpr5_agpr6_agpr7_agpr8_agpr9_agpr10_agpr11_agpr12_agpr13_agpr14_agpr15_agpr16_agpr17_agpr18_agpr19_agpr20_agpr21_agpr22_agpr23_agpr24_agpr25_agpr26_agpr27_agpr28_agpr29_agpr30_agpr31
                                        ; kill: killed $vgpr42_vgpr43_vgpr44_vgpr45_vgpr46_vgpr47_vgpr48_vgpr49_vgpr50_vgpr51_vgpr52_vgpr53_vgpr54_vgpr55_vgpr56_vgpr57_vgpr58_vgpr59_vgpr60_vgpr61_vgpr62_vgpr63_vgpr64_vgpr65_vgpr66_vgpr67_vgpr68_vgpr69_vgpr70_vgpr71_vgpr72_vgpr73
                                        ; implicit-def: $vgpr42_vgpr43_vgpr44_vgpr45_vgpr46_vgpr47_vgpr48_vgpr49_vgpr50_vgpr51_vgpr52_vgpr53_vgpr54_vgpr55_vgpr56_vgpr57_vgpr58_vgpr59_vgpr60_vgpr61_vgpr62_vgpr63_vgpr64_vgpr65_vgpr66_vgpr67_vgpr68_vgpr69_vgpr70_vgpr71_vgpr72_vgpr73
                                        ; implicit-def: $agpr188_agpr189_agpr190_agpr191_agpr192_agpr193_agpr194_agpr195_agpr196_agpr197_agpr198_agpr199_agpr200_agpr201_agpr202_agpr203_agpr204_agpr205_agpr206_agpr207_agpr208_agpr209_agpr210_agpr211_agpr212_agpr213_agpr214_agpr215_agpr216_agpr217_agpr218_agpr219
                                        ; implicit-def: $vgpr172_vgpr173_vgpr174_vgpr175_vgpr176_vgpr177_vgpr178_vgpr179_vgpr180_vgpr181_vgpr182_vgpr183_vgpr184_vgpr185_vgpr186_vgpr187_vgpr188_vgpr189_vgpr190_vgpr191_vgpr192_vgpr193_vgpr194_vgpr195_vgpr196_vgpr197_vgpr198_vgpr199_vgpr200_vgpr201_vgpr202_vgpr203
                                        ; implicit-def: $vgpr216_vgpr217_vgpr218_vgpr219_vgpr220_vgpr221_vgpr222_vgpr223_vgpr224_vgpr225_vgpr226_vgpr227_vgpr228_vgpr229_vgpr230_vgpr231_vgpr232_vgpr233_vgpr234_vgpr235_vgpr236_vgpr237_vgpr238_vgpr239_vgpr240_vgpr241_vgpr242_vgpr243_vgpr244_vgpr245_vgpr246_vgpr247
                                        ; implicit-def: $vgpr134_vgpr135_vgpr136_vgpr137_vgpr138_vgpr139_vgpr140_vgpr141_vgpr142_vgpr143_vgpr144_vgpr145_vgpr146_vgpr147_vgpr148_vgpr149_vgpr150_vgpr151_vgpr152_vgpr153_vgpr154_vgpr155_vgpr156_vgpr157_vgpr158_vgpr159_vgpr160_vgpr161_vgpr162_vgpr163_vgpr164_vgpr165
                                        ; implicit-def: $vgpr100_vgpr101_vgpr102_vgpr103_vgpr104_vgpr105_vgpr106_vgpr107_vgpr108_vgpr109_vgpr110_vgpr111_vgpr112_vgpr113_vgpr114_vgpr115_vgpr116_vgpr117_vgpr118_vgpr119_vgpr120_vgpr121_vgpr122_vgpr123_vgpr124_vgpr125_vgpr126_vgpr127_vgpr128_vgpr129_vgpr130_vgpr131
                                        ; implicit-def: $agpr14_agpr15_agpr16_agpr17_agpr18_agpr19_agpr20_agpr21_agpr22_agpr23_agpr24_agpr25_agpr26_agpr27_agpr28_agpr29_agpr30_agpr31_agpr32_agpr33_agpr34_agpr35_agpr36_agpr37_agpr38_agpr39_agpr40_agpr41_agpr42_agpr43_agpr44_agpr45
                                        ; kill: killed $vgpr42_vgpr43_vgpr44_vgpr45_vgpr46_vgpr47_vgpr48_vgpr49_vgpr50_vgpr51_vgpr52_vgpr53_vgpr54_vgpr55_vgpr56_vgpr57_vgpr58_vgpr59_vgpr60_vgpr61_vgpr62_vgpr63_vgpr64_vgpr65_vgpr66_vgpr67_vgpr68_vgpr69_vgpr70_vgpr71_vgpr72_vgpr73
                                        ; implicit-def: $vgpr42_vgpr43_vgpr44_vgpr45_vgpr46_vgpr47_vgpr48_vgpr49_vgpr50_vgpr51_vgpr52_vgpr53_vgpr54_vgpr55_vgpr56_vgpr57_vgpr58_vgpr59_vgpr60_vgpr61_vgpr62_vgpr63_vgpr64_vgpr65_vgpr66_vgpr67_vgpr68_vgpr69_vgpr70_vgpr71_vgpr72_vgpr73
                                        ; kill: killed $vgpr42_vgpr43_vgpr44_vgpr45_vgpr46_vgpr47_vgpr48_vgpr49_vgpr50_vgpr51_vgpr52_vgpr53_vgpr54_vgpr55_vgpr56_vgpr57_vgpr58_vgpr59_vgpr60_vgpr61_vgpr62_vgpr63_vgpr64_vgpr65_vgpr66_vgpr67_vgpr68_vgpr69_vgpr70_vgpr71_vgpr72_vgpr73
                                        ; implicit-def: $agpr154_agpr155_agpr156_agpr157_agpr158_agpr159_agpr160_agpr161_agpr162_agpr163_agpr164_agpr165_agpr166_agpr167_agpr168_agpr169_agpr170_agpr171_agpr172_agpr173_agpr174_agpr175_agpr176_agpr177_agpr178_agpr179_agpr180_agpr181_agpr182_agpr183_agpr184_agpr185
                                        ; implicit-def: $agpr104_agpr105_agpr106_agpr107_agpr108_agpr109_agpr110_agpr111_agpr112_agpr113_agpr114_agpr115_agpr116_agpr117_agpr118_agpr119_agpr120_agpr121_agpr122_agpr123_agpr124_agpr125_agpr126_agpr127_agpr128_agpr129_agpr130_agpr131_agpr132_agpr133_agpr134_agpr135
                                        ; implicit-def: $agpr206_agpr207_agpr208_agpr209_agpr210_agpr211_agpr212_agpr213_agpr214_agpr215_agpr216_agpr217_agpr218_agpr219_agpr220_agpr221_agpr222_agpr223_agpr224_agpr225_agpr226_agpr227_agpr228_agpr229_agpr230_agpr231_agpr232_agpr233_agpr234_agpr235_agpr236_agpr237
	s_waitcnt vmcnt(3)
	v_cndmask_b32_e64 v14, v5, v0, s[16:17]
	v_cndmask_b32_e64 v16, v6, v0, s[14:15]
	buffer_load_dword v4, v12, s[0:3], 0 offen
	buffer_load_dword v5, v12, s[0:3], 0 offen offset:4
	buffer_load_dword v6, v13, s[0:3], 0 offen
	buffer_load_dword v7, v13, s[0:3], 0 offen offset:4
	v_cndmask_b32_e64 v12, v14, v0, s[22:23]
	v_cndmask_b32_e64 v13, v15, v0, s[16:17]
	;; [unrolled: 1-line block ×34, first 2 shown]
	s_waitcnt vmcnt(6)
	v_add_f64 v[14:15], -v[0:1], 0
	s_waitcnt vmcnt(4)
	v_add_f64 v[0:1], v[2:3], -v[0:1]
	v_div_scale_f64 v[2:3], s[44:45], v[0:1], v[0:1], v[14:15]
	v_rcp_f64_e32 v[16:17], v[2:3]
	v_cndmask_b32_e64 v12, v18, v0, s[38:39]
	v_div_scale_f64 v[18:19], vcc, v[14:15], v[0:1], v[14:15]
	v_fma_f64 v[20:21], -v[2:3], v[16:17], 1.0
	v_fmac_f64_e32 v[16:17], v[16:17], v[20:21]
	v_fma_f64 v[20:21], -v[2:3], v[16:17], 1.0
	v_fmac_f64_e32 v[16:17], v[16:17], v[20:21]
	v_mul_f64 v[20:21], v[18:19], v[16:17]
	v_fma_f64 v[2:3], -v[2:3], v[20:21], v[18:19]
	v_div_fmas_f64 v[2:3], v[2:3], v[16:17], v[20:21]
	v_div_fixup_f64 v[0:1], v[2:3], v[0:1], v[14:15]
	v_add_f64 v[2:3], -v[0:1], 1.0
	v_mul_f64 v[14:15], v[10:11], v[2:3]
	v_fmac_f64_e32 v[14:15], v[8:9], v[0:1]
	v_cndmask_b32_e64 v8, v22, v0, s[18:19]
	v_cndmask_b32_e64 v8, v8, v0, s[20:21]
	;; [unrolled: 1-line block ×14, first 2 shown]
	v_mul_f64 v[16:17], v[8:9], v[2:3]
	v_cndmask_b32_e64 v8, v251, v253, s[6:7]
	v_cndmask_b32_e64 v10, v10, v255, s[10:11]
	v_cndmask_b32_e64 v8, v8, v255, s[12:13]
	v_cndmask_b32_e64 v10, v10, v0, s[14:15]
	v_cndmask_b32_e64 v8, v8, v0, s[16:17]
	v_cndmask_b32_e64 v10, v10, v0, s[18:19]
	v_cndmask_b32_e64 v8, v8, v0, s[22:23]
	v_cndmask_b32_e64 v10, v10, v0, s[20:21]
	v_cndmask_b32_e64 v8, v8, v0, s[26:27]
	v_cndmask_b32_e64 v10, v10, v0, s[24:25]
	v_cndmask_b32_e64 v8, v8, v0, s[30:31]
	v_cndmask_b32_e64 v10, v10, v0, s[28:29]
	v_cndmask_b32_e64 v8, v8, v0, s[36:37]
	v_cndmask_b32_e64 v11, v10, v0, s[34:35]
	v_cndmask_b32_e64 v10, v250, v252, s[8:9]
	v_cndmask_b32_e64 v9, v8, v0, s[38:39]
	v_cndmask_b32_e64 v8, v250, v252, s[6:7]
	v_cndmask_b32_e64 v10, v10, v254, s[10:11]
	v_cndmask_b32_e64 v8, v8, v254, s[12:13]
	v_cndmask_b32_e64 v10, v10, v0, s[14:15]
	v_cndmask_b32_e64 v8, v8, v0, s[16:17]
	v_cndmask_b32_e64 v10, v10, v0, s[18:19]
	v_cndmask_b32_e64 v8, v8, v0, s[22:23]
	v_cndmask_b32_e64 v10, v10, v0, s[20:21]
	v_cndmask_b32_e64 v8, v8, v0, s[26:27]
	v_cndmask_b32_e64 v10, v10, v0, s[24:25]
	v_cndmask_b32_e64 v8, v8, v0, s[30:31]
	v_cndmask_b32_e64 v10, v10, v0, s[28:29]
	v_cndmask_b32_e64 v8, v8, v0, s[36:37]
	v_cndmask_b32_e64 v10, v10, v0, s[34:35]
	v_cndmask_b32_e64 v8, v8, v0, s[38:39]
	v_mul_f64 v[40:41], v[10:11], v[2:3]
	v_cndmask_b32_e64 v10, v249, v33, s[8:9]
	v_fmac_f64_e32 v[40:41], v[8:9], v[0:1]
	v_cndmask_b32_e64 v8, v249, v33, s[6:7]
	v_cndmask_b32_e64 v10, v10, v205, s[10:11]
	;; [unrolled: 1-line block ×31, first 2 shown]
	v_mul_f64 v[98:99], v[10:11], v[2:3]
	v_fmac_f64_e32 v[16:17], v[12:13], v[0:1]
	v_fmac_f64_e32 v[98:99], v[8:9], v[0:1]
	s_waitcnt vmcnt(2)
	v_add_f64 v[0:1], -v[4:5], 0
	s_waitcnt vmcnt(0)
	v_add_f64 v[2:3], v[6:7], -v[4:5]
	v_div_scale_f64 v[4:5], s[6:7], v[2:3], v[2:3], v[0:1]
	v_rcp_f64_e32 v[6:7], v[4:5]
	v_cmp_eq_u32_e64 s[6:7], 2, v211
	v_cmp_eq_u32_e64 s[8:9], 3, v211
	;; [unrolled: 1-line block ×3, first 2 shown]
	v_fma_f64 v[8:9], -v[4:5], v[6:7], 1.0
	v_fmac_f64_e32 v[6:7], v[6:7], v[8:9]
	v_fma_f64 v[8:9], -v[4:5], v[6:7], 1.0
	v_fmac_f64_e32 v[6:7], v[6:7], v[8:9]
	v_div_scale_f64 v[8:9], vcc, v[0:1], v[2:3], v[0:1]
	v_mul_f64 v[10:11], v[8:9], v[6:7]
	v_fma_f64 v[4:5], -v[4:5], v[10:11], v[8:9]
	v_cmp_eq_u32_e64 s[12:13], 5, v211
	s_nop 0
	v_div_fmas_f64 v[4:5], v[4:5], v[6:7], v[10:11]
	v_cmp_eq_u32_e32 vcc, 1, v211
	v_div_fixup_f64 v[0:1], v[4:5], v[2:3], v[0:1]
	v_cndmask_b32_e32 v2, v29, v27, vcc
	v_cndmask_b32_e64 v2, v2, v25, s[6:7]
	v_cndmask_b32_e64 v2, v2, v15, s[8:9]
	;; [unrolled: 1-line block ×4, first 2 shown]
	v_cmp_eq_u32_e64 s[14:15], 6, v211
	v_cndmask_b32_e64 v2, v2, v0, s[14:15]
	v_cmp_eq_u32_e64 s[16:17], 7, v211
	v_cmp_eq_u32_e64 s[20:21], 1, v213
	v_cndmask_b32_e64 v2, v2, v0, s[16:17]
	v_cmp_eq_u32_e64 s[18:19], 8, v211
	v_cndmask_b32_e64 v4, v29, v27, s[20:21]
	;; [unrolled: 2-line block ×3, first 2 shown]
	v_cndmask_b32_e32 v2, v28, v26, vcc
	v_cndmask_b32_e64 v4, v4, v25, s[22:23]
	v_cmp_eq_u32_e64 s[24:25], 3, v213
	v_cndmask_b32_e64 v2, v2, v24, s[6:7]
	v_cndmask_b32_e64 v4, v4, v15, s[24:25]
	v_cmp_eq_u32_e64 s[26:27], 4, v213
	v_cndmask_b32_e64 v2, v2, v14, s[8:9]
	v_cndmask_b32_e64 v4, v4, v0, s[26:27]
	v_cmp_eq_u32_e64 s[28:29], 5, v213
	v_cndmask_b32_e64 v2, v2, v0, s[10:11]
	v_cndmask_b32_e64 v4, v4, v0, s[28:29]
	v_cmp_eq_u32_e64 s[30:31], 6, v213
	v_cndmask_b32_e64 v2, v2, v0, s[12:13]
	v_cndmask_b32_e64 v4, v4, v0, s[30:31]
	v_cmp_eq_u32_e64 s[34:35], 7, v213
	v_cndmask_b32_e64 v2, v2, v0, s[14:15]
	v_cndmask_b32_e64 v4, v4, v0, s[34:35]
	v_cmp_eq_u32_e64 s[36:37], 8, v213
	v_cndmask_b32_e64 v2, v2, v0, s[16:17]
	v_cndmask_b32_e64 v5, v4, v0, s[36:37]
	v_cndmask_b32_e64 v4, v28, v26, s[20:21]
	;; [unrolled: 1-line block ×4, first 2 shown]
	v_pk_mov_b32 v[6:7], v[14:15], v[14:15] op_sel:[0,1]
	buffer_store_dword v0, off, s[0:3], 0 offset:224 ; 4-byte Folded Spill
	s_nop 0
	buffer_store_dword v1, off, s[0:3], 0 offset:228 ; 4-byte Folded Spill
	buffer_store_dword v2, off, s[0:3], 0 offset:232 ; 4-byte Folded Spill
	;; [unrolled: 1-line block ×31, first 2 shown]
	v_cndmask_b32_e64 v4, v4, v14, s[24:25]
	v_cndmask_b32_e64 v4, v4, v0, s[26:27]
	;; [unrolled: 1-line block ×6, first 2 shown]
	v_add_f64 v[6:7], -v[0:1], 1.0
	v_mul_f64 v[8:9], v[6:7], v[4:5]
	v_fmac_f64_e32 v[8:9], v[0:1], v[2:3]
	buffer_store_dword v0, off, s[0:3], 0 offset:96 ; 4-byte Folded Spill
	s_nop 0
	buffer_store_dword v1, off, s[0:3], 0 offset:100 ; 4-byte Folded Spill
	buffer_store_dword v2, off, s[0:3], 0 offset:104 ; 4-byte Folded Spill
	;; [unrolled: 1-line block ×31, first 2 shown]
	v_cndmask_b32_e32 v2, v37, v35, vcc
	v_cndmask_b32_e32 v3, v36, v34, vcc
	v_cndmask_b32_e64 v5, v36, v34, s[20:21]
	v_cndmask_b32_e64 v2, v2, v31, s[6:7]
	;; [unrolled: 1-line block ×23, first 2 shown]
	v_pk_mov_b32 v[8:9], v[16:17], v[16:17] op_sel:[0,1]
	buffer_store_dword v2, off, s[0:3], 0 offset:352 ; 4-byte Folded Spill
	s_nop 0
	buffer_store_dword v3, off, s[0:3], 0 offset:356 ; 4-byte Folded Spill
	buffer_store_dword v4, off, s[0:3], 0 offset:360 ; 4-byte Folded Spill
	;; [unrolled: 1-line block ×31, first 2 shown]
	v_cndmask_b32_e64 v5, v5, v16, s[24:25]
	v_cndmask_b32_e64 v5, v5, v0, s[26:27]
	;; [unrolled: 1-line block ×7, first 2 shown]
	v_mul_f64 v[8:9], v[6:7], v[4:5]
	v_fmac_f64_e32 v[8:9], v[0:1], v[2:3]
	buffer_store_dword v0, off, s[0:3], 0 offset:608 ; 4-byte Folded Spill
	s_nop 0
	buffer_store_dword v1, off, s[0:3], 0 offset:612 ; 4-byte Folded Spill
	buffer_store_dword v2, off, s[0:3], 0 offset:616 ; 4-byte Folded Spill
	;; [unrolled: 1-line block ×31, first 2 shown]
	v_cndmask_b32_e32 v2, v251, v253, vcc
	v_cndmask_b32_e32 v3, v250, v252, vcc
	v_cndmask_b32_e64 v2, v2, v255, s[6:7]
	v_cndmask_b32_e64 v3, v3, v254, s[6:7]
	v_cndmask_b32_e64 v2, v2, v41, s[8:9]
	v_cndmask_b32_e64 v3, v3, v40, s[8:9]
	v_cndmask_b32_e64 v5, v250, v252, s[20:21]
	v_cndmask_b32_e64 v5, v5, v254, s[22:23]
	v_cndmask_b32_e64 v5, v5, v40, s[24:25]
	v_cndmask_b32_e64 v2, v2, v0, s[10:11]
	v_cndmask_b32_e64 v3, v3, v0, s[10:11]
	v_cndmask_b32_e64 v2, v2, v0, s[12:13]
	v_cndmask_b32_e64 v3, v3, v0, s[12:13]
	v_cndmask_b32_e64 v2, v2, v0, s[14:15]
	v_cndmask_b32_e64 v3, v3, v0, s[14:15]
	v_cndmask_b32_e64 v2, v2, v0, s[16:17]
	v_cndmask_b32_e64 v4, v3, v0, s[16:17]
	v_cndmask_b32_e64 v3, v2, v0, s[18:19]
	v_cndmask_b32_e64 v2, v4, v0, s[18:19]
	v_cndmask_b32_e64 v4, v251, v253, s[20:21]
	v_cndmask_b32_e64 v4, v4, v255, s[22:23]
	v_cndmask_b32_e64 v4, v4, v41, s[24:25]
	v_cndmask_b32_e64 v4, v4, v0, s[26:27]
	v_cndmask_b32_e64 v5, v5, v0, s[26:27]
	v_cndmask_b32_e64 v4, v4, v0, s[28:29]
	v_cndmask_b32_e64 v5, v5, v0, s[28:29]
	v_cndmask_b32_e64 v4, v4, v0, s[30:31]
	v_cndmask_b32_e64 v5, v5, v0, s[30:31]
	v_cndmask_b32_e64 v4, v4, v0, s[34:35]
	v_cndmask_b32_e64 v8, v5, v0, s[34:35]
	v_cndmask_b32_e64 v5, v4, v0, s[36:37]
	v_cndmask_b32_e64 v4, v8, v0, s[36:37]
	v_mul_f64 v[74:75], v[6:7], v[4:5]
	v_fmac_f64_e32 v[74:75], v[0:1], v[2:3]
	v_cndmask_b32_e32 v2, v249, v33, vcc
	v_cndmask_b32_e32 v3, v248, v32, vcc
	v_cndmask_b32_e64 v2, v2, v205, s[6:7]
	v_cndmask_b32_e64 v3, v3, v204, s[6:7]
	;; [unrolled: 1-line block ×30, first 2 shown]
	v_mul_f64 v[132:133], v[6:7], v[4:5]
	v_fmac_f64_e32 v[132:133], v[0:1], v[2:3]
	v_mov_b32_e32 v0, 5
	buffer_store_dword v0, off, s[0:3], 0 offset:84
                                        ; implicit-def: $vgpr0_vgpr1_vgpr2_vgpr3_vgpr4_vgpr5_vgpr6_vgpr7_vgpr8_vgpr9_vgpr10_vgpr11_vgpr12_vgpr13_vgpr14_vgpr15_vgpr16_vgpr17_vgpr18_vgpr19_vgpr20_vgpr21_vgpr22_vgpr23_vgpr24_vgpr25_vgpr26_vgpr27_vgpr28_vgpr29_vgpr30_vgpr31
.LBB2_10:
	s_or_b64 exec, exec, s[42:43]
	v_accvgpr_read_b32 v102, a244
	s_mov_b64 s[6:7], 0
	v_mov_b32_e32 v0, 0
	v_accvgpr_read_b32 v103, a245
	buffer_store_dword v212, off, s[0:3], 0 offset:80
	s_branch .LBB2_12
.LBB2_11:                               ;   in Loop: Header=BB2_12 Depth=1
	s_or_b64 exec, exec, s[10:11]
	s_waitcnt vmcnt(0)
	v_cmp_gt_i32_e32 vcc, 0, v1
	s_or_b64 s[6:7], vcc, s[6:7]
	v_mov_b32_e32 v0, v1
	s_andn2_b64 exec, exec, s[6:7]
	s_cbranch_execz .LBB2_18
.LBB2_12:                               ; =>This Inner Loop Header: Depth=1
	v_lshlrev_b32_e32 v1, 2, v0
	v_add_u32_e32 v3, 0, v1
	v_add_u32_e32 v2, v3, v1
	buffer_load_dword v4, v2, s[0:3], 0 offen
	buffer_load_dword v5, v2, s[0:3], 0 offen offset:4
	buffer_load_dword v1, v3, s[0:3], 0 offen offset:40
	s_mov_b64 s[8:9], 0
                                        ; implicit-def: $vgpr2
	s_waitcnt vmcnt(1)
	v_cmp_ngt_f64_e32 vcc, 0, v[4:5]
	s_and_saveexec_b64 s[10:11], vcc
	s_xor_b64 s[10:11], exec, s[10:11]
	s_cbranch_execnz .LBB2_15
; %bb.13:                               ;   in Loop: Header=BB2_12 Depth=1
	s_andn2_saveexec_b64 s[10:11], s[10:11]
	s_cbranch_execnz .LBB2_16
.LBB2_14:                               ;   in Loop: Header=BB2_12 Depth=1
	s_or_b64 exec, exec, s[10:11]
	s_and_saveexec_b64 s[10:11], s[8:9]
	s_cbranch_execz .LBB2_11
	s_branch .LBB2_17
.LBB2_15:                               ;   in Loop: Header=BB2_12 Depth=1
	buffer_load_dword v2, off, s[0:3], 0 offset:80
                                        ; implicit-def: $vgpr3
	s_waitcnt vmcnt(0)
	v_cmp_eq_u32_e32 vcc, -1, v2
	v_mov_b32_e32 v2, 0x50
	s_and_b64 s[8:9], vcc, exec
	s_andn2_saveexec_b64 s[10:11], s[10:11]
	s_cbranch_execz .LBB2_14
.LBB2_16:                               ;   in Loop: Header=BB2_12 Depth=1
	buffer_load_dword v4, off, s[0:3], 0 offset:84
	v_mov_b32_e32 v2, 0x54
	s_or_b64 s[8:9], s[8:9], exec
	s_waitcnt vmcnt(0)
	buffer_store_dword v4, v3, s[0:3], 0 offen offset:40
	s_or_b64 exec, exec, s[10:11]
	s_and_saveexec_b64 s[10:11], s[8:9]
	s_cbranch_execz .LBB2_11
.LBB2_17:                               ;   in Loop: Header=BB2_12 Depth=1
	buffer_store_dword v0, v2, s[0:3], 0 offen
	s_branch .LBB2_11
.LBB2_18:
	s_or_b64 exec, exec, s[6:7]
	s_and_saveexec_b64 s[6:7], s[4:5]
	s_cbranch_execz .LBB2_20
; %bb.19:
	v_mov_b32_e32 v0, 0
	v_cmp_gt_f64_e32 vcc, 0, v[206:207]
	v_lshl_add_u32 v1, v208, 2, v0
	s_or_b64 s[4:5], s[40:41], vcc
	v_lshl_add_u32 v3, v215, 2, v0
	v_lshl_add_u32 v0, v210, 2, v0
	v_cndmask_b32_e64 v2, v211, -1, s[4:5]
	buffer_store_dword v215, v0, s[0:3], 0 offen offset:40
	buffer_store_dword v208, v3, s[0:3], 0 offen offset:40
	;; [unrolled: 1-line block ×3, first 2 shown]
.LBB2_20:
	s_or_b64 exec, exec, s[6:7]
	buffer_load_dword v10, off, s[0:3], 0 offset:80
	buffer_load_dword a26, off, s[0:3], 0 offset:224 ; 4-byte Folded Reload
	buffer_load_dword a27, off, s[0:3], 0 offset:228 ; 4-byte Folded Reload
	;; [unrolled: 1-line block ×32, first 2 shown]
	v_accvgpr_read_b32 v4, a254
	v_accvgpr_read_b32 v2, a250
	;; [unrolled: 1-line block ×8, first 2 shown]
	v_mov_b32_e32 v12, -1
	s_waitcnt vmcnt(32)
	v_cmp_eq_u32_e32 vcc, 1, v10
	s_waitcnt vmcnt(24)
	v_accvgpr_read_b32 v6, a32
	v_accvgpr_read_b32 v7, a33
	buffer_load_dword a26, off, s[0:3], 0 offset:96 ; 4-byte Folded Reload
	buffer_load_dword a27, off, s[0:3], 0 offset:100 ; 4-byte Folded Reload
	;; [unrolled: 1-line block ×64, first 2 shown]
	v_cmp_eq_u32_e64 s[4:5], 2, v10
	v_cndmask_b32_e32 v1, v102, v4, vcc
	v_cmp_eq_u32_e64 s[6:7], 3, v10
	v_cndmask_b32_e64 v1, v1, v2, s[4:5]
	v_cndmask_b32_e32 v0, v103, v5, vcc
	v_cmp_eq_u32_e32 vcc, 4, v10
	v_cndmask_b32_e64 v1, v1, v6, s[6:7]
	v_cndmask_b32_e64 v0, v0, v3, s[4:5]
	v_cmp_eq_u32_e64 s[4:5], 5, v10
	v_cndmask_b32_e64 v0, v0, v7, s[6:7]
	v_pk_mov_b32 v[4:5], -1, -1
	v_pk_mov_b32 v[6:7], v[4:5], v[4:5] op_sel:[0,1]
	s_waitcnt vmcnt(54)
	v_accvgpr_read_b32 v8, a34
	v_cndmask_b32_e32 v1, v1, v8, vcc
	s_waitcnt vmcnt(21)
	v_cndmask_b32_e64 v1, v1, v52, s[4:5]
	buffer_load_dword v42, off, s[0:3], 0 offset:2016 ; 4-byte Folded Reload
	buffer_load_dword v43, off, s[0:3], 0 offset:2020 ; 4-byte Folded Reload
	buffer_load_dword v44, off, s[0:3], 0 offset:2024 ; 4-byte Folded Reload
	buffer_load_dword v45, off, s[0:3], 0 offset:2028 ; 4-byte Folded Reload
	buffer_load_dword v46, off, s[0:3], 0 offset:2032 ; 4-byte Folded Reload
	buffer_load_dword v47, off, s[0:3], 0 offset:2036 ; 4-byte Folded Reload
	buffer_load_dword v48, off, s[0:3], 0 offset:2040 ; 4-byte Folded Reload
	buffer_load_dword v49, off, s[0:3], 0 offset:2044 ; 4-byte Folded Reload
	buffer_load_dword v50, off, s[0:3], 0 offset:2048 ; 4-byte Folded Reload
	buffer_load_dword v51, off, s[0:3], 0 offset:2052 ; 4-byte Folded Reload
	buffer_load_dword v52, off, s[0:3], 0 offset:2056 ; 4-byte Folded Reload
	buffer_load_dword v53, off, s[0:3], 0 offset:2060 ; 4-byte Folded Reload
	buffer_load_dword v54, off, s[0:3], 0 offset:2064 ; 4-byte Folded Reload
	buffer_load_dword v55, off, s[0:3], 0 offset:2068 ; 4-byte Folded Reload
	buffer_load_dword v56, off, s[0:3], 0 offset:2072 ; 4-byte Folded Reload
	buffer_load_dword v57, off, s[0:3], 0 offset:2076 ; 4-byte Folded Reload
	buffer_load_dword v58, off, s[0:3], 0 offset:2080 ; 4-byte Folded Reload
	buffer_load_dword v59, off, s[0:3], 0 offset:2084 ; 4-byte Folded Reload
	buffer_load_dword v60, off, s[0:3], 0 offset:2088 ; 4-byte Folded Reload
	buffer_load_dword v61, off, s[0:3], 0 offset:2092 ; 4-byte Folded Reload
	buffer_load_dword v62, off, s[0:3], 0 offset:2096 ; 4-byte Folded Reload
	buffer_load_dword v63, off, s[0:3], 0 offset:2100 ; 4-byte Folded Reload
	buffer_load_dword v64, off, s[0:3], 0 offset:2104 ; 4-byte Folded Reload
	buffer_load_dword v65, off, s[0:3], 0 offset:2108 ; 4-byte Folded Reload
	buffer_load_dword v66, off, s[0:3], 0 offset:2112 ; 4-byte Folded Reload
	buffer_load_dword v67, off, s[0:3], 0 offset:2116 ; 4-byte Folded Reload
	buffer_load_dword v68, off, s[0:3], 0 offset:2120 ; 4-byte Folded Reload
	buffer_load_dword v69, off, s[0:3], 0 offset:2124 ; 4-byte Folded Reload
	buffer_load_dword v70, off, s[0:3], 0 offset:2128 ; 4-byte Folded Reload
	buffer_load_dword v71, off, s[0:3], 0 offset:2132 ; 4-byte Folded Reload
	buffer_load_dword v72, off, s[0:3], 0 offset:2136 ; 4-byte Folded Reload
	buffer_load_dword v73, off, s[0:3], 0 offset:2140 ; 4-byte Folded Reload
	v_accvgpr_read_b32 v9, a35
	v_cndmask_b32_e32 v0, v0, v9, vcc
	v_cmp_eq_u32_e32 vcc, 6, v10
	v_cndmask_b32_e64 v0, v0, v11, s[4:5]
	v_cmp_eq_u32_e64 s[4:5], 7, v10
	v_cndmask_b32_e32 v0, v0, v13, vcc
	v_cndmask_b32_e64 v0, v0, v15, s[4:5]
	v_mov_b32_e32 v11, -1
	s_waitcnt vmcnt(19)
	v_cndmask_b32_e32 v1, v1, v54, vcc
	buffer_load_dword v42, off, s[0:3], 0 offset:1888 ; 4-byte Folded Reload
	buffer_load_dword v43, off, s[0:3], 0 offset:1892 ; 4-byte Folded Reload
	;; [unrolled: 1-line block ×32, first 2 shown]
	v_cmp_eq_u32_e32 vcc, 8, v10
	v_cndmask_b32_e32 v3, v0, v17, vcc
	s_waitcnt vmcnt(17)
	v_cndmask_b32_e64 v1, v1, v56, s[4:5]
	buffer_load_dword v42, off, s[0:3], 0 offset:1760 ; 4-byte Folded Reload
	buffer_load_dword v43, off, s[0:3], 0 offset:1764 ; 4-byte Folded Reload
	;; [unrolled: 1-line block ×32, first 2 shown]
	v_cmp_lt_i32_e64 s[4:5], -1, v10
	s_waitcnt vmcnt(15)
	v_cndmask_b32_e32 v2, v1, v58, vcc
	v_pk_mov_b32 v[0:1], 0, 0
	s_and_saveexec_b64 s[14:15], s[4:5]
	s_cbranch_execz .LBB2_24
; %bb.21:
	buffer_load_dword a26, off, s[0:3], 0 offset:224 ; 4-byte Folded Reload
	buffer_load_dword a27, off, s[0:3], 0 offset:228 ; 4-byte Folded Reload
	;; [unrolled: 1-line block ×32, first 2 shown]
	v_accvgpr_read_b32 v18, a250
	v_accvgpr_read_b32 v20, a254
	s_mov_b64 s[16:17], 0
	v_mov_b32_e32 v11, -1
	v_mov_b32_e32 v5, v10
	v_mov_b32_e32 v4, -1
	v_mov_b32_e32 v6, -1
	;; [unrolled: 1-line block ×3, first 2 shown]
	v_pk_mov_b32 v[8:9], v[2:3], v[2:3] op_sel:[0,1]
	v_accvgpr_read_b32 v19, a251
	v_accvgpr_read_b32 v21, a255
	;; [unrolled: 1-line block ×6, first 2 shown]
	s_waitcnt vmcnt(24)
	v_accvgpr_read_b32 v22, a32
	v_accvgpr_read_b32 v23, a33
	buffer_load_dword a26, off, s[0:3], 0 offset:96 ; 4-byte Folded Reload
	buffer_load_dword a27, off, s[0:3], 0 offset:100 ; 4-byte Folded Reload
	;; [unrolled: 1-line block ×64, first 2 shown]
	s_waitcnt vmcnt(54)
	v_accvgpr_read_b32 v24, a34
	s_waitcnt vmcnt(15)
	v_mov_b32_e32 v26, v58
	buffer_load_dword v42, off, s[0:3], 0 offset:1888 ; 4-byte Folded Reload
	buffer_load_dword v43, off, s[0:3], 0 offset:1892 ; 4-byte Folded Reload
	;; [unrolled: 1-line block ×32, first 2 shown]
	v_accvgpr_read_b32 v25, a35
	s_waitcnt vmcnt(17)
	v_mov_b32_e32 v28, v56
	buffer_load_dword v42, off, s[0:3], 0 offset:2016 ; 4-byte Folded Reload
	buffer_load_dword v43, off, s[0:3], 0 offset:2020 ; 4-byte Folded Reload
	;; [unrolled: 1-line block ×32, first 2 shown]
	s_waitcnt vmcnt(19)
	v_mov_b32_e32 v30, v54
	buffer_load_dword v42, off, s[0:3], 0 offset:2144 ; 4-byte Folded Reload
	buffer_load_dword v43, off, s[0:3], 0 offset:2148 ; 4-byte Folded Reload
	;; [unrolled: 1-line block ×32, first 2 shown]
	s_waitcnt vmcnt(21)
	v_mov_b32_e32 v34, v52
.LBB2_22:                               ; =>This Inner Loop Header: Depth=1
	v_lshl_add_u32 v0, v5, 2, v209
	buffer_load_dword v7, v0, s[0:3], 0 offen
	s_waitcnt vmcnt(0)
	v_cmp_gt_i32_e32 vcc, 0, v7
	v_cndmask_b32_e32 v13, v7, v10, vcc
	v_cmp_eq_u32_e64 s[6:7], 1, v13
	v_cndmask_b32_e64 v0, v103, v21, s[6:7]
	v_cmp_eq_u32_e64 s[8:9], 2, v13
	v_cndmask_b32_e64 v1, v102, v20, s[6:7]
	v_cndmask_b32_e64 v0, v0, v19, s[8:9]
	v_cmp_eq_u32_e64 s[10:11], 3, v13
	v_cndmask_b32_e64 v1, v1, v18, s[8:9]
	;; [unrolled: 3-line block ×6, first 2 shown]
	v_cndmask_b32_e64 v0, v0, v27, s[8:9]
	v_cndmask_b32_e64 v1, v1, v28, s[8:9]
	v_cmp_eq_u32_e64 s[6:7], 8, v13
	v_cndmask_b32_e64 v15, v0, v17, s[6:7]
	v_cndmask_b32_e64 v14, v1, v26, s[6:7]
	v_pk_mov_b32 v[0:1], v[8:9], v[8:9] op_sel:[0,1]
	v_cmp_le_f64_e64 s[6:7], 0, v[0:1]
	v_cmp_gt_f64_e64 s[8:9], 0, v[0:1]
	v_cmp_gt_f64_e64 s[10:11], 0, v[14:15]
	v_cmp_le_f64_e64 s[12:13], 0, v[14:15]
	s_and_b64 s[6:7], s[6:7], s[10:11]
	s_and_b64 s[8:9], s[8:9], s[12:13]
	v_cndmask_b32_e64 v6, v6, v13, s[6:7]
	v_cndmask_b32_e64 v12, v12, v13, s[8:9]
	;; [unrolled: 1-line block ×4, first 2 shown]
	s_or_b64 s[16:17], vcc, s[16:17]
	v_mov_b32_e32 v5, v7
	v_pk_mov_b32 v[8:9], v[14:15], v[14:15] op_sel:[0,1]
	s_andn2_b64 exec, exec, s[16:17]
	s_cbranch_execnz .LBB2_22
; %bb.23:
	s_or_b64 exec, exec, s[16:17]
.LBB2_24:
	s_or_b64 exec, exec, s[14:15]
	v_cmp_lt_i32_e64 s[6:7], -1, v11
	v_mov_b32_e32 v8, -1
	v_mov_b32_e32 v7, -1
	;; [unrolled: 1-line block ×3, first 2 shown]
	s_and_saveexec_b64 s[56:57], s[6:7]
	s_cbranch_execz .LBB2_26
; %bb.25:
	buffer_load_dword a26, off, s[0:3], 0 offset:224 ; 4-byte Folded Reload
	buffer_load_dword a27, off, s[0:3], 0 offset:228 ; 4-byte Folded Reload
	;; [unrolled: 1-line block ×32, first 2 shown]
	v_accvgpr_read_b32 v78, a254
	v_cmp_eq_u32_e64 s[8:9], 1, v6
	v_accvgpr_read_b32 v79, a255
	v_accvgpr_read_b32 v76, a250
	v_cndmask_b32_e64 v5, v103, v79, s[8:9]
	v_cmp_eq_u32_e64 s[10:11], 2, v6
	v_accvgpr_read_b32 v77, a251
	v_cndmask_b32_e64 v5, v5, v77, s[10:11]
	v_cmp_eq_u32_e64 s[12:13], 3, v6
	v_cmp_eq_u32_e64 s[14:15], 4, v6
	;; [unrolled: 1-line block ×3, first 2 shown]
	v_accvgpr_read_b32 v49, a217
	v_cmp_eq_u32_e64 s[18:19], 6, v6
	v_accvgpr_read_b32 v47, a117
	v_cmp_eq_u32_e64 s[20:21], 7, v6
	v_accvgpr_read_b32 v45, a169
	v_cmp_eq_u32_e64 s[22:23], 8, v6
	v_accvgpr_read_b32 v17, a205
	v_cmp_eq_u32_e64 s[24:25], 1, v11
	v_cndmask_b32_e64 v6, v102, v78, s[8:9]
	v_cmp_eq_u32_e64 s[26:27], 2, v11
	v_cndmask_b32_e64 v9, v102, v78, s[24:25]
	v_cndmask_b32_e64 v6, v6, v76, s[10:11]
	v_cmp_eq_u32_e64 s[28:29], 3, v11
	v_cndmask_b32_e64 v9, v9, v76, s[26:27]
	v_cmp_eq_u32_e64 s[30:31], 4, v11
	v_cmp_eq_u32_e64 s[34:35], 5, v11
	;; [unrolled: 1-line block ×5, first 2 shown]
	v_accvgpr_read_b32 v84, a248
	v_accvgpr_read_b32 v86, a246
	;; [unrolled: 1-line block ×6, first 2 shown]
	s_waitcnt vmcnt(42)
	v_accvgpr_read_b32 v63, a153
	v_accvgpr_read_b32 v61, a141
	s_waitcnt vmcnt(32)
	v_accvgpr_read_b32 v73, a103
	v_accvgpr_read_b32 v71, a187
	;; [unrolled: 3-line block ×3, first 2 shown]
	buffer_load_dword a26, off, s[0:3], 0 offset:96 ; 4-byte Folded Reload
	buffer_load_dword a27, off, s[0:3], 0 offset:100 ; 4-byte Folded Reload
	buffer_load_dword a28, off, s[0:3], 0 offset:104 ; 4-byte Folded Reload
	buffer_load_dword a29, off, s[0:3], 0 offset:108 ; 4-byte Folded Reload
	buffer_load_dword a30, off, s[0:3], 0 offset:112 ; 4-byte Folded Reload
	buffer_load_dword a31, off, s[0:3], 0 offset:116 ; 4-byte Folded Reload
	buffer_load_dword a32, off, s[0:3], 0 offset:120 ; 4-byte Folded Reload
	buffer_load_dword a33, off, s[0:3], 0 offset:124 ; 4-byte Folded Reload
	buffer_load_dword a34, off, s[0:3], 0 offset:128 ; 4-byte Folded Reload
	buffer_load_dword a35, off, s[0:3], 0 offset:132 ; 4-byte Folded Reload
	buffer_load_dword a36, off, s[0:3], 0 offset:136 ; 4-byte Folded Reload
	buffer_load_dword a37, off, s[0:3], 0 offset:140 ; 4-byte Folded Reload
	buffer_load_dword a38, off, s[0:3], 0 offset:144 ; 4-byte Folded Reload
	buffer_load_dword a39, off, s[0:3], 0 offset:148 ; 4-byte Folded Reload
	buffer_load_dword a40, off, s[0:3], 0 offset:152 ; 4-byte Folded Reload
	buffer_load_dword a41, off, s[0:3], 0 offset:156 ; 4-byte Folded Reload
	buffer_load_dword a42, off, s[0:3], 0 offset:160 ; 4-byte Folded Reload
	buffer_load_dword a43, off, s[0:3], 0 offset:164 ; 4-byte Folded Reload
	buffer_load_dword a44, off, s[0:3], 0 offset:168 ; 4-byte Folded Reload
	buffer_load_dword a45, off, s[0:3], 0 offset:172 ; 4-byte Folded Reload
	buffer_load_dword a46, off, s[0:3], 0 offset:176 ; 4-byte Folded Reload
	buffer_load_dword a47, off, s[0:3], 0 offset:180 ; 4-byte Folded Reload
	buffer_load_dword a48, off, s[0:3], 0 offset:184 ; 4-byte Folded Reload
	buffer_load_dword a49, off, s[0:3], 0 offset:188 ; 4-byte Folded Reload
	buffer_load_dword a50, off, s[0:3], 0 offset:192 ; 4-byte Folded Reload
	buffer_load_dword a51, off, s[0:3], 0 offset:196 ; 4-byte Folded Reload
	buffer_load_dword a52, off, s[0:3], 0 offset:200 ; 4-byte Folded Reload
	buffer_load_dword a53, off, s[0:3], 0 offset:204 ; 4-byte Folded Reload
	buffer_load_dword a54, off, s[0:3], 0 offset:208 ; 4-byte Folded Reload
	buffer_load_dword a55, off, s[0:3], 0 offset:212 ; 4-byte Folded Reload
	buffer_load_dword a56, off, s[0:3], 0 offset:216 ; 4-byte Folded Reload
	buffer_load_dword a57, off, s[0:3], 0 offset:220 ; 4-byte Folded Reload
	v_cndmask_b32_e64 v5, v5, v39, s[12:13]
	v_cndmask_b32_e64 v6, v6, v38, s[12:13]
	;; [unrolled: 1-line block ×3, first 2 shown]
	s_waitcnt vmcnt(22)
	v_accvgpr_read_b32 v43, a35
	v_accvgpr_read_b32 v42, a34
	buffer_load_dword a26, off, s[0:3], 0 offset:2144 ; 4-byte Folded Reload
	buffer_load_dword a27, off, s[0:3], 0 offset:2148 ; 4-byte Folded Reload
	;; [unrolled: 1-line block ×32, first 2 shown]
	v_cndmask_b32_e64 v5, v5, v43, s[14:15]
	v_cndmask_b32_e64 v5, v5, v49, s[16:17]
	;; [unrolled: 1-line block ×17, first 2 shown]
	s_waitcnt vmcnt(21)
	v_accvgpr_read_b32 v50, a36
	buffer_load_dword a26, off, s[0:3], 0 offset:2016 ; 4-byte Folded Reload
	buffer_load_dword a27, off, s[0:3], 0 offset:2020 ; 4-byte Folded Reload
	buffer_load_dword a28, off, s[0:3], 0 offset:2024 ; 4-byte Folded Reload
	buffer_load_dword a29, off, s[0:3], 0 offset:2028 ; 4-byte Folded Reload
	buffer_load_dword a30, off, s[0:3], 0 offset:2032 ; 4-byte Folded Reload
	buffer_load_dword a31, off, s[0:3], 0 offset:2036 ; 4-byte Folded Reload
	buffer_load_dword a32, off, s[0:3], 0 offset:2040 ; 4-byte Folded Reload
	buffer_load_dword a33, off, s[0:3], 0 offset:2044 ; 4-byte Folded Reload
	buffer_load_dword a34, off, s[0:3], 0 offset:2048 ; 4-byte Folded Reload
	buffer_load_dword a35, off, s[0:3], 0 offset:2052 ; 4-byte Folded Reload
	buffer_load_dword a36, off, s[0:3], 0 offset:2056 ; 4-byte Folded Reload
	buffer_load_dword a37, off, s[0:3], 0 offset:2060 ; 4-byte Folded Reload
	buffer_load_dword a38, off, s[0:3], 0 offset:2064 ; 4-byte Folded Reload
	buffer_load_dword a39, off, s[0:3], 0 offset:2068 ; 4-byte Folded Reload
	buffer_load_dword a40, off, s[0:3], 0 offset:2072 ; 4-byte Folded Reload
	buffer_load_dword a41, off, s[0:3], 0 offset:2076 ; 4-byte Folded Reload
	buffer_load_dword a42, off, s[0:3], 0 offset:2080 ; 4-byte Folded Reload
	buffer_load_dword a43, off, s[0:3], 0 offset:2084 ; 4-byte Folded Reload
	buffer_load_dword a44, off, s[0:3], 0 offset:2088 ; 4-byte Folded Reload
	buffer_load_dword a45, off, s[0:3], 0 offset:2092 ; 4-byte Folded Reload
	buffer_load_dword a46, off, s[0:3], 0 offset:2096 ; 4-byte Folded Reload
	buffer_load_dword a47, off, s[0:3], 0 offset:2100 ; 4-byte Folded Reload
	buffer_load_dword a48, off, s[0:3], 0 offset:2104 ; 4-byte Folded Reload
	buffer_load_dword a49, off, s[0:3], 0 offset:2108 ; 4-byte Folded Reload
	buffer_load_dword a50, off, s[0:3], 0 offset:2112 ; 4-byte Folded Reload
	buffer_load_dword a51, off, s[0:3], 0 offset:2116 ; 4-byte Folded Reload
	buffer_load_dword a52, off, s[0:3], 0 offset:2120 ; 4-byte Folded Reload
	buffer_load_dword a53, off, s[0:3], 0 offset:2124 ; 4-byte Folded Reload
	buffer_load_dword a54, off, s[0:3], 0 offset:2128 ; 4-byte Folded Reload
	buffer_load_dword a55, off, s[0:3], 0 offset:2132 ; 4-byte Folded Reload
	buffer_load_dword a56, off, s[0:3], 0 offset:2136 ; 4-byte Folded Reload
	buffer_load_dword a57, off, s[0:3], 0 offset:2140 ; 4-byte Folded Reload
	v_cndmask_b32_e64 v6, v6, v50, s[16:17]
	v_cndmask_b32_e64 v9, v9, v50, s[34:35]
	s_waitcnt vmcnt(19)
	v_accvgpr_read_b32 v48, a38
	buffer_load_dword a26, off, s[0:3], 0 offset:1888 ; 4-byte Folded Reload
	buffer_load_dword a27, off, s[0:3], 0 offset:1892 ; 4-byte Folded Reload
	buffer_load_dword a28, off, s[0:3], 0 offset:1896 ; 4-byte Folded Reload
	buffer_load_dword a29, off, s[0:3], 0 offset:1900 ; 4-byte Folded Reload
	buffer_load_dword a30, off, s[0:3], 0 offset:1904 ; 4-byte Folded Reload
	buffer_load_dword a31, off, s[0:3], 0 offset:1908 ; 4-byte Folded Reload
	buffer_load_dword a32, off, s[0:3], 0 offset:1912 ; 4-byte Folded Reload
	buffer_load_dword a33, off, s[0:3], 0 offset:1916 ; 4-byte Folded Reload
	buffer_load_dword a34, off, s[0:3], 0 offset:1920 ; 4-byte Folded Reload
	buffer_load_dword a35, off, s[0:3], 0 offset:1924 ; 4-byte Folded Reload
	buffer_load_dword a36, off, s[0:3], 0 offset:1928 ; 4-byte Folded Reload
	buffer_load_dword a37, off, s[0:3], 0 offset:1932 ; 4-byte Folded Reload
	buffer_load_dword a38, off, s[0:3], 0 offset:1936 ; 4-byte Folded Reload
	buffer_load_dword a39, off, s[0:3], 0 offset:1940 ; 4-byte Folded Reload
	buffer_load_dword a40, off, s[0:3], 0 offset:1944 ; 4-byte Folded Reload
	buffer_load_dword a41, off, s[0:3], 0 offset:1948 ; 4-byte Folded Reload
	buffer_load_dword a42, off, s[0:3], 0 offset:1952 ; 4-byte Folded Reload
	buffer_load_dword a43, off, s[0:3], 0 offset:1956 ; 4-byte Folded Reload
	buffer_load_dword a44, off, s[0:3], 0 offset:1960 ; 4-byte Folded Reload
	buffer_load_dword a45, off, s[0:3], 0 offset:1964 ; 4-byte Folded Reload
	buffer_load_dword a46, off, s[0:3], 0 offset:1968 ; 4-byte Folded Reload
	buffer_load_dword a47, off, s[0:3], 0 offset:1972 ; 4-byte Folded Reload
	buffer_load_dword a48, off, s[0:3], 0 offset:1976 ; 4-byte Folded Reload
	buffer_load_dword a49, off, s[0:3], 0 offset:1980 ; 4-byte Folded Reload
	buffer_load_dword a50, off, s[0:3], 0 offset:1984 ; 4-byte Folded Reload
	buffer_load_dword a51, off, s[0:3], 0 offset:1988 ; 4-byte Folded Reload
	buffer_load_dword a52, off, s[0:3], 0 offset:1992 ; 4-byte Folded Reload
	buffer_load_dword a53, off, s[0:3], 0 offset:1996 ; 4-byte Folded Reload
	buffer_load_dword a54, off, s[0:3], 0 offset:2000 ; 4-byte Folded Reload
	buffer_load_dword a55, off, s[0:3], 0 offset:2004 ; 4-byte Folded Reload
	buffer_load_dword a56, off, s[0:3], 0 offset:2008 ; 4-byte Folded Reload
	buffer_load_dword a57, off, s[0:3], 0 offset:2012 ; 4-byte Folded Reload
	v_cndmask_b32_e64 v6, v6, v48, s[18:19]
	v_cndmask_b32_e64 v9, v9, v48, s[36:37]
	;; [unrolled: 36-line block ×3, first 2 shown]
	s_waitcnt vmcnt(15)
	v_accvgpr_read_b32 v44, a42
	v_cndmask_b32_e64 v6, v6, v44, s[22:23]
	v_cndmask_b32_e64 v14, v9, v44, s[42:43]
	v_add_f64 v[18:19], -v[6:7], 0
	v_add_f64 v[20:21], v[14:15], -v[6:7]
	v_div_scale_f64 v[22:23], s[40:41], v[20:21], v[20:21], v[18:19]
	v_rcp_f64_e32 v[24:25], v[22:23]
	v_fma_f64 v[26:27], -v[22:23], v[24:25], 1.0
	v_fmac_f64_e32 v[24:25], v[24:25], v[26:27]
	v_fma_f64 v[26:27], -v[22:23], v[24:25], 1.0
	v_fmac_f64_e32 v[24:25], v[24:25], v[26:27]
	v_div_scale_f64 v[26:27], vcc, v[18:19], v[20:21], v[18:19]
	v_mul_f64 v[28:29], v[26:27], v[24:25]
	v_fma_f64 v[22:23], -v[22:23], v[28:29], v[26:27]
	s_nop 1
	v_div_fmas_f64 v[22:23], v[22:23], v[24:25], v[28:29]
	v_div_fixup_f64 v[30:31], v[22:23], v[20:21], v[18:19]
	v_add_f64 v[34:35], -v[30:31], 1.0
	v_mul_f64 v[36:37], v[6:7], v[34:35]
	buffer_load_dword v7, off, s[0:3], 0 offset:84
	buffer_load_dword a26, off, s[0:3], 0 offset:352 ; 4-byte Folded Reload
	buffer_load_dword a27, off, s[0:3], 0 offset:356 ; 4-byte Folded Reload
	;; [unrolled: 1-line block ×32, first 2 shown]
	v_fmac_f64_e32 v[36:37], v[14:15], v[30:31]
	v_cndmask_b32_e64 v22, v86, v84, s[8:9]
	v_cndmask_b32_e64 v20, v86, v84, s[24:25]
	;; [unrolled: 1-line block ×4, first 2 shown]
	v_accvgpr_read_b32 v24, a58
	s_waitcnt vmcnt(32)
	v_cmp_eq_u32_e64 s[46:47], 7, v7
	v_cmp_eq_u32_e32 vcc, 4, v7
	v_cndmask_b32_e64 v9, v46, v36, s[46:47]
	v_cndmask_b32_e32 v29, v42, v36, vcc
	v_cndmask_b32_e32 v46, v43, v37, vcc
	s_waitcnt vmcnt(24)
	v_accvgpr_read_b32 v43, a33
	v_cmp_eq_u32_e64 s[50:51], 5, v7
	v_accvgpr_read_b32 v42, a32
	buffer_load_dword a26, off, s[0:3], 0 offset:608 ; 4-byte Folded Reload
	buffer_load_dword a27, off, s[0:3], 0 offset:612 ; 4-byte Folded Reload
	;; [unrolled: 1-line block ×32, first 2 shown]
	v_cndmask_b32_e64 v18, v45, v37, s[46:47]
	v_cndmask_b32_e64 v15, v49, v37, s[50:51]
	v_accvgpr_read_b32 v49, a25
	v_accvgpr_read_b32 v45, a13
	buffer_load_dword a0, off, s[0:3], 0 offset:1632 ; 4-byte Folded Reload
	buffer_load_dword a1, off, s[0:3], 0 offset:1636 ; 4-byte Folded Reload
	;; [unrolled: 1-line block ×32, first 2 shown]
	v_cmp_eq_u32_e64 s[44:45], 8, v7
	v_cndmask_b32_e64 v6, v44, v36, s[44:45]
	v_cndmask_b32_e64 v14, v50, v36, s[50:51]
	;; [unrolled: 1-line block ×5, first 2 shown]
	v_cmp_eq_u32_e64 s[48:49], 6, v7
	v_cmp_eq_u32_e64 s[40:41], 3, v7
	v_cndmask_b32_e64 v13, v48, v36, s[48:49]
	v_cndmask_b32_e64 v19, v17, v37, s[44:45]
	;; [unrolled: 1-line block ×5, first 2 shown]
	s_waitcnt vmcnt(54)
	v_accvgpr_read_b32 v51, a35
	v_cndmask_b32_e64 v5, v5, v51, s[30:31]
	v_cndmask_b32_e64 v5, v5, v49, s[34:35]
	;; [unrolled: 1-line block ×3, first 2 shown]
	v_accvgpr_read_b32 v50, a34
	s_waitcnt vmcnt(16)
	v_accvgpr_read_b32 v27, a15
	buffer_load_dword a0, off, s[0:3], 0 offset:1504 ; 4-byte Folded Reload
	buffer_load_dword a1, off, s[0:3], 0 offset:1508 ; 4-byte Folded Reload
	;; [unrolled: 1-line block ×32, first 2 shown]
	v_cndmask_b32_e64 v5, v5, v27, s[38:39]
	v_cndmask_b32_e64 v22, v22, v50, s[14:15]
	;; [unrolled: 1-line block ×3, first 2 shown]
	s_waitcnt vmcnt(21)
	v_accvgpr_read_b32 v44, a10
	buffer_load_dword a0, off, s[0:3], 0 offset:1376 ; 4-byte Folded Reload
	buffer_load_dword a1, off, s[0:3], 0 offset:1380 ; 4-byte Folded Reload
	buffer_load_dword a2, off, s[0:3], 0 offset:1384 ; 4-byte Folded Reload
	buffer_load_dword a3, off, s[0:3], 0 offset:1388 ; 4-byte Folded Reload
	buffer_load_dword a4, off, s[0:3], 0 offset:1392 ; 4-byte Folded Reload
	buffer_load_dword a5, off, s[0:3], 0 offset:1396 ; 4-byte Folded Reload
	buffer_load_dword a6, off, s[0:3], 0 offset:1400 ; 4-byte Folded Reload
	buffer_load_dword a7, off, s[0:3], 0 offset:1404 ; 4-byte Folded Reload
	buffer_load_dword a8, off, s[0:3], 0 offset:1408 ; 4-byte Folded Reload
	buffer_load_dword a9, off, s[0:3], 0 offset:1412 ; 4-byte Folded Reload
	buffer_load_dword a10, off, s[0:3], 0 offset:1416 ; 4-byte Folded Reload
	buffer_load_dword a11, off, s[0:3], 0 offset:1420 ; 4-byte Folded Reload
	buffer_load_dword a12, off, s[0:3], 0 offset:1424 ; 4-byte Folded Reload
	buffer_load_dword a13, off, s[0:3], 0 offset:1428 ; 4-byte Folded Reload
	buffer_load_dword a14, off, s[0:3], 0 offset:1432 ; 4-byte Folded Reload
	buffer_load_dword a15, off, s[0:3], 0 offset:1436 ; 4-byte Folded Reload
	buffer_load_dword a16, off, s[0:3], 0 offset:1440 ; 4-byte Folded Reload
	buffer_load_dword a17, off, s[0:3], 0 offset:1444 ; 4-byte Folded Reload
	buffer_load_dword a18, off, s[0:3], 0 offset:1448 ; 4-byte Folded Reload
	buffer_load_dword a19, off, s[0:3], 0 offset:1452 ; 4-byte Folded Reload
	buffer_load_dword a20, off, s[0:3], 0 offset:1456 ; 4-byte Folded Reload
	buffer_load_dword a21, off, s[0:3], 0 offset:1460 ; 4-byte Folded Reload
	buffer_load_dword a22, off, s[0:3], 0 offset:1464 ; 4-byte Folded Reload
	buffer_load_dword a23, off, s[0:3], 0 offset:1468 ; 4-byte Folded Reload
	buffer_load_dword a24, off, s[0:3], 0 offset:1472 ; 4-byte Folded Reload
	buffer_load_dword a25, off, s[0:3], 0 offset:1476 ; 4-byte Folded Reload
	buffer_load_dword a26, off, s[0:3], 0 offset:1480 ; 4-byte Folded Reload
	buffer_load_dword a27, off, s[0:3], 0 offset:1484 ; 4-byte Folded Reload
	buffer_load_dword a28, off, s[0:3], 0 offset:1488 ; 4-byte Folded Reload
	buffer_load_dword a29, off, s[0:3], 0 offset:1492 ; 4-byte Folded Reload
	buffer_load_dword a30, off, s[0:3], 0 offset:1496 ; 4-byte Folded Reload
	buffer_load_dword a31, off, s[0:3], 0 offset:1500 ; 4-byte Folded Reload
	v_cndmask_b32_e64 v22, v22, v44, s[16:17]
	v_cndmask_b32_e64 v20, v20, v44, s[34:35]
	s_waitcnt vmcnt(19)
	v_accvgpr_read_b32 v28, a12
	buffer_load_dword a0, off, s[0:3], 0 offset:1120 ; 4-byte Folded Reload
	buffer_load_dword a1, off, s[0:3], 0 offset:1124 ; 4-byte Folded Reload
	buffer_load_dword a2, off, s[0:3], 0 offset:1128 ; 4-byte Folded Reload
	buffer_load_dword a3, off, s[0:3], 0 offset:1132 ; 4-byte Folded Reload
	buffer_load_dword a4, off, s[0:3], 0 offset:1136 ; 4-byte Folded Reload
	buffer_load_dword a5, off, s[0:3], 0 offset:1140 ; 4-byte Folded Reload
	buffer_load_dword a6, off, s[0:3], 0 offset:1144 ; 4-byte Folded Reload
	buffer_load_dword a7, off, s[0:3], 0 offset:1148 ; 4-byte Folded Reload
	buffer_load_dword a8, off, s[0:3], 0 offset:1152 ; 4-byte Folded Reload
	buffer_load_dword a9, off, s[0:3], 0 offset:1156 ; 4-byte Folded Reload
	buffer_load_dword a10, off, s[0:3], 0 offset:1160 ; 4-byte Folded Reload
	buffer_load_dword a11, off, s[0:3], 0 offset:1164 ; 4-byte Folded Reload
	buffer_load_dword a12, off, s[0:3], 0 offset:1168 ; 4-byte Folded Reload
	buffer_load_dword a13, off, s[0:3], 0 offset:1172 ; 4-byte Folded Reload
	buffer_load_dword a14, off, s[0:3], 0 offset:1176 ; 4-byte Folded Reload
	buffer_load_dword a15, off, s[0:3], 0 offset:1180 ; 4-byte Folded Reload
	buffer_load_dword a16, off, s[0:3], 0 offset:1184 ; 4-byte Folded Reload
	buffer_load_dword a17, off, s[0:3], 0 offset:1188 ; 4-byte Folded Reload
	buffer_load_dword a18, off, s[0:3], 0 offset:1192 ; 4-byte Folded Reload
	buffer_load_dword a19, off, s[0:3], 0 offset:1196 ; 4-byte Folded Reload
	buffer_load_dword a20, off, s[0:3], 0 offset:1200 ; 4-byte Folded Reload
	buffer_load_dword a21, off, s[0:3], 0 offset:1204 ; 4-byte Folded Reload
	buffer_load_dword a22, off, s[0:3], 0 offset:1208 ; 4-byte Folded Reload
	buffer_load_dword a23, off, s[0:3], 0 offset:1212 ; 4-byte Folded Reload
	buffer_load_dword a24, off, s[0:3], 0 offset:1216 ; 4-byte Folded Reload
	buffer_load_dword a25, off, s[0:3], 0 offset:1220 ; 4-byte Folded Reload
	buffer_load_dword a26, off, s[0:3], 0 offset:1224 ; 4-byte Folded Reload
	buffer_load_dword a27, off, s[0:3], 0 offset:1228 ; 4-byte Folded Reload
	buffer_load_dword a28, off, s[0:3], 0 offset:1232 ; 4-byte Folded Reload
	buffer_load_dword a29, off, s[0:3], 0 offset:1236 ; 4-byte Folded Reload
	buffer_load_dword a30, off, s[0:3], 0 offset:1240 ; 4-byte Folded Reload
	buffer_load_dword a31, off, s[0:3], 0 offset:1244 ; 4-byte Folded Reload
	v_cndmask_b32_e64 v22, v22, v28, s[18:19]
	v_cndmask_b32_e64 v20, v20, v28, s[36:37]
	;; [unrolled: 36-line block ×3, first 2 shown]
	v_cndmask_b32_e64 v22, v22, v24, s[22:23]
	v_cndmask_b32_e64 v20, v20, v24, s[42:43]
	s_waitcnt vmcnt(14)
	v_accvgpr_read_b32 v25, a17
	buffer_load_dword a0, off, s[0:3], 0 offset:992 ; 4-byte Folded Reload
	buffer_load_dword a1, off, s[0:3], 0 offset:996 ; 4-byte Folded Reload
	;; [unrolled: 1-line block ×32, first 2 shown]
	v_cndmask_b32_e64 v21, v5, v25, s[42:43]
	v_cndmask_b32_e64 v5, v87, v85, s[8:9]
	;; [unrolled: 1-line block ×9, first 2 shown]
	v_mul_f64 v[38:39], v[22:23], v[34:35]
	v_fmac_f64_e32 v[38:39], v[20:21], v[30:31]
	v_cndmask_b32_e64 v22, v28, v38, s[48:49]
	v_cndmask_b32_e64 v28, v25, v39, s[44:45]
	;; [unrolled: 1-line block ×3, first 2 shown]
	v_cndmask_b32_e32 v49, v50, v38, vcc
	v_cndmask_b32_e32 v50, v51, v39, vcc
	v_cndmask_b32_e64 v5, v251, v253, s[24:25]
	v_cndmask_b32_e64 v5, v5, v255, s[26:27]
	;; [unrolled: 1-line block ×19, first 2 shown]
	s_waitcnt vmcnt(16)
	v_accvgpr_read_b32 v59, a15
	buffer_load_dword a0, off, s[0:3], 0 offset:864 ; 4-byte Folded Reload
	buffer_load_dword a1, off, s[0:3], 0 offset:868 ; 4-byte Folded Reload
	buffer_load_dword a2, off, s[0:3], 0 offset:872 ; 4-byte Folded Reload
	buffer_load_dword a3, off, s[0:3], 0 offset:876 ; 4-byte Folded Reload
	buffer_load_dword a4, off, s[0:3], 0 offset:880 ; 4-byte Folded Reload
	buffer_load_dword a5, off, s[0:3], 0 offset:884 ; 4-byte Folded Reload
	buffer_load_dword a6, off, s[0:3], 0 offset:888 ; 4-byte Folded Reload
	buffer_load_dword a7, off, s[0:3], 0 offset:892 ; 4-byte Folded Reload
	buffer_load_dword a8, off, s[0:3], 0 offset:896 ; 4-byte Folded Reload
	buffer_load_dword a9, off, s[0:3], 0 offset:900 ; 4-byte Folded Reload
	buffer_load_dword a10, off, s[0:3], 0 offset:904 ; 4-byte Folded Reload
	buffer_load_dword a11, off, s[0:3], 0 offset:908 ; 4-byte Folded Reload
	buffer_load_dword a12, off, s[0:3], 0 offset:912 ; 4-byte Folded Reload
	buffer_load_dword a13, off, s[0:3], 0 offset:916 ; 4-byte Folded Reload
	buffer_load_dword a14, off, s[0:3], 0 offset:920 ; 4-byte Folded Reload
	buffer_load_dword a15, off, s[0:3], 0 offset:924 ; 4-byte Folded Reload
	buffer_load_dword a16, off, s[0:3], 0 offset:928 ; 4-byte Folded Reload
	buffer_load_dword a17, off, s[0:3], 0 offset:932 ; 4-byte Folded Reload
	buffer_load_dword a18, off, s[0:3], 0 offset:936 ; 4-byte Folded Reload
	buffer_load_dword a19, off, s[0:3], 0 offset:940 ; 4-byte Folded Reload
	buffer_load_dword a20, off, s[0:3], 0 offset:944 ; 4-byte Folded Reload
	buffer_load_dword a21, off, s[0:3], 0 offset:948 ; 4-byte Folded Reload
	buffer_load_dword a22, off, s[0:3], 0 offset:952 ; 4-byte Folded Reload
	buffer_load_dword a23, off, s[0:3], 0 offset:956 ; 4-byte Folded Reload
	buffer_load_dword a24, off, s[0:3], 0 offset:960 ; 4-byte Folded Reload
	buffer_load_dword a25, off, s[0:3], 0 offset:964 ; 4-byte Folded Reload
	buffer_load_dword a26, off, s[0:3], 0 offset:968 ; 4-byte Folded Reload
	buffer_load_dword a27, off, s[0:3], 0 offset:972 ; 4-byte Folded Reload
	buffer_load_dword a28, off, s[0:3], 0 offset:976 ; 4-byte Folded Reload
	buffer_load_dword a29, off, s[0:3], 0 offset:980 ; 4-byte Folded Reload
	buffer_load_dword a30, off, s[0:3], 0 offset:984 ; 4-byte Folded Reload
	buffer_load_dword a31, off, s[0:3], 0 offset:988 ; 4-byte Folded Reload
	v_cndmask_b32_e64 v5, v5, v59, s[38:39]
	s_waitcnt vmcnt(17)
	v_accvgpr_read_b32 v56, a14
	buffer_load_dword a0, off, s[0:3], 0 offset:736 ; 4-byte Folded Reload
	buffer_load_dword a1, off, s[0:3], 0 offset:740 ; 4-byte Folded Reload
	buffer_load_dword a2, off, s[0:3], 0 offset:744 ; 4-byte Folded Reload
	buffer_load_dword a3, off, s[0:3], 0 offset:748 ; 4-byte Folded Reload
	buffer_load_dword a4, off, s[0:3], 0 offset:752 ; 4-byte Folded Reload
	buffer_load_dword a5, off, s[0:3], 0 offset:756 ; 4-byte Folded Reload
	buffer_load_dword a6, off, s[0:3], 0 offset:760 ; 4-byte Folded Reload
	buffer_load_dword a7, off, s[0:3], 0 offset:764 ; 4-byte Folded Reload
	buffer_load_dword a8, off, s[0:3], 0 offset:768 ; 4-byte Folded Reload
	buffer_load_dword a9, off, s[0:3], 0 offset:772 ; 4-byte Folded Reload
	buffer_load_dword a10, off, s[0:3], 0 offset:776 ; 4-byte Folded Reload
	buffer_load_dword a11, off, s[0:3], 0 offset:780 ; 4-byte Folded Reload
	buffer_load_dword a12, off, s[0:3], 0 offset:784 ; 4-byte Folded Reload
	buffer_load_dword a13, off, s[0:3], 0 offset:788 ; 4-byte Folded Reload
	buffer_load_dword a14, off, s[0:3], 0 offset:792 ; 4-byte Folded Reload
	buffer_load_dword a15, off, s[0:3], 0 offset:796 ; 4-byte Folded Reload
	buffer_load_dword a16, off, s[0:3], 0 offset:800 ; 4-byte Folded Reload
	buffer_load_dword a17, off, s[0:3], 0 offset:804 ; 4-byte Folded Reload
	buffer_load_dword a18, off, s[0:3], 0 offset:808 ; 4-byte Folded Reload
	buffer_load_dword a19, off, s[0:3], 0 offset:812 ; 4-byte Folded Reload
	buffer_load_dword a20, off, s[0:3], 0 offset:816 ; 4-byte Folded Reload
	buffer_load_dword a21, off, s[0:3], 0 offset:820 ; 4-byte Folded Reload
	buffer_load_dword a22, off, s[0:3], 0 offset:824 ; 4-byte Folded Reload
	buffer_load_dword a23, off, s[0:3], 0 offset:828 ; 4-byte Folded Reload
	buffer_load_dword a24, off, s[0:3], 0 offset:832 ; 4-byte Folded Reload
	buffer_load_dword a25, off, s[0:3], 0 offset:836 ; 4-byte Folded Reload
	buffer_load_dword a26, off, s[0:3], 0 offset:840 ; 4-byte Folded Reload
	buffer_load_dword a27, off, s[0:3], 0 offset:844 ; 4-byte Folded Reload
	buffer_load_dword a28, off, s[0:3], 0 offset:848 ; 4-byte Folded Reload
	buffer_load_dword a29, off, s[0:3], 0 offset:852 ; 4-byte Folded Reload
	buffer_load_dword a30, off, s[0:3], 0 offset:856 ; 4-byte Folded Reload
	buffer_load_dword a31, off, s[0:3], 0 offset:860 ; 4-byte Folded Reload
	v_cndmask_b32_e64 v20, v20, v56, s[38:39]
	;; [unrolled: 35-line block ×3, first 2 shown]
	v_cndmask_b32_e64 v5, v251, v253, s[8:9]
	v_cndmask_b32_e64 v5, v5, v255, s[10:11]
	;; [unrolled: 1-line block ×14, first 2 shown]
	s_waitcnt vmcnt(15)
	v_accvgpr_read_b32 v54, a16
	v_cndmask_b32_e64 v42, v20, v54, s[42:43]
	v_cndmask_b32_e64 v20, v250, v252, s[8:9]
	;; [unrolled: 1-line block ×11, first 2 shown]
	v_mul_f64 v[44:45], v[44:45], v[34:35]
	v_cndmask_b32_e64 v20, v20, v98, s[12:13]
	v_fmac_f64_e32 v[44:45], v[42:43], v[30:31]
	v_cndmask_b32_e64 v20, v20, v132, s[14:15]
	v_cndmask_b32_e64 v58, v51, v45, s[44:45]
	v_accvgpr_read_b32 v51, a91
	v_cndmask_b32_e64 v20, v20, v226, s[16:17]
	v_cndmask_b32_e64 v5, v5, v51, s[20:21]
	;; [unrolled: 1-line block ×3, first 2 shown]
	v_accvgpr_read_b32 v43, a75
	v_cndmask_b32_e64 v65, v41, v45, s[40:41]
	v_cndmask_b32_e64 v20, v20, v170, s[20:21]
	;; [unrolled: 1-line block ×18, first 2 shown]
	v_mul_f64 v[34:35], v[40:41], v[34:35]
	v_cndmask_b32_e64 v20, v20, v170, s[38:39]
	v_cndmask_b32_e64 v41, v5, v43, s[42:43]
	v_mov_b32_e32 v5, 0
	v_cndmask_b32_e64 v40, v20, v16, s[42:43]
	v_lshl_add_u32 v20, v7, 2, v5
	buffer_load_dword v20, v20, s[0:3], 0 offen offset:40
	v_cndmask_b32_e32 v62, v74, v44, vcc
	v_fmac_f64_e32 v[34:35], v[40:41], v[30:31]
	v_cmp_eq_u32_e64 s[8:9], 2, v7
	v_cmp_eq_u32_e64 s[28:29], 1, v7
	;; [unrolled: 1-line block ×3, first 2 shown]
	v_cndmask_b32_e64 v70, v51, v35, s[46:47]
	v_cndmask_b32_e64 v72, v73, v35, s[50:51]
	v_cndmask_b32_e64 v51, v76, v36, s[8:9]
	v_cndmask_b32_e64 v73, v78, v36, s[28:29]
	v_cndmask_b32_e64 v76, v77, v37, s[8:9]
	v_cndmask_b32_e64 v77, v79, v37, s[28:29]
	v_cndmask_b32_e64 v78, v103, v37, s[34:35]
	v_cmp_eq_u32_e64 s[24:25], 1, v12
	v_cndmask_b32_e64 v92, v32, v34, s[28:29]
	v_cndmask_b32_e64 v32, v78, v77, s[24:25]
	v_cmp_eq_u32_e64 s[26:27], 2, v12
	v_cndmask_b32_e64 v32, v32, v76, s[26:27]
	v_cmp_eq_u32_e64 s[30:31], 3, v12
	;; [unrolled: 2-line block ×3, first 2 shown]
	v_cndmask_b32_e64 v90, v98, v34, s[40:41]
	v_cndmask_b32_e64 v95, v99, v35, s[40:41]
	v_cndmask_b32_e64 v32, v32, v46, s[36:37]
	v_cmp_eq_u32_e64 s[40:41], 5, v12
	v_cndmask_b32_e64 v54, v54, v44, s[44:45]
	v_cndmask_b32_e64 v16, v16, v34, s[44:45]
	v_cndmask_b32_e64 v69, v43, v35, s[44:45]
	v_cndmask_b32_e64 v32, v32, v15, s[40:41]
	v_cmp_eq_u32_e64 s[44:45], 6, v12
	v_cndmask_b32_e64 v55, v56, v44, s[46:47]
	;; [unrolled: 5-line block ×3, first 2 shown]
	v_cndmask_b32_e64 v60, v61, v45, s[48:49]
	v_cndmask_b32_e64 v61, v63, v45, s[50:51]
	v_cndmask_b32_e32 v63, v75, v45, vcc
	v_cndmask_b32_e64 v67, v184, v34, s[48:49]
	v_cndmask_b32_e64 v71, v71, v35, s[48:49]
	;; [unrolled: 1-line block ×12, first 2 shown]
	v_cmp_eq_u32_e64 s[8:9], 1, v4
	v_cndmask_b32_e64 v32, v32, v18, s[46:47]
	v_cmp_eq_u32_e64 s[48:49], 8, v12
	v_cmp_eq_u32_e64 s[10:11], 2, v4
	;; [unrolled: 1-line block ×8, first 2 shown]
	v_cndmask_b32_e64 v4, v75, v73, s[8:9]
	v_cndmask_b32_e64 v37, v32, v19, s[48:49]
	;; [unrolled: 1-line block ×19, first 2 shown]
	s_waitcnt vmcnt(0)
	v_lshl_add_u32 v5, v20, 2, v5
	buffer_load_dword v74, v5, s[0:3], 0 offen offset:40
	v_cndmask_b32_e64 v5, v78, v77, s[8:9]
	v_cndmask_b32_e64 v5, v5, v76, s[10:11]
	;; [unrolled: 1-line block ×8, first 2 shown]
	v_add_f64 v[30:31], -v[4:5], 0
	v_add_f64 v[38:39], v[36:37], -v[4:5]
	v_div_scale_f64 v[40:41], s[38:39], v[38:39], v[38:39], v[30:31]
	v_rcp_f64_e32 v[42:43], v[40:41]
	v_cndmask_b32_e32 v89, v132, v34, vcc
	v_cndmask_b32_e32 v94, v133, v35, vcc
	v_cndmask_b32_e64 v68, v226, v34, s[50:51]
	v_fma_f64 v[32:33], -v[40:41], v[42:43], 1.0
	v_fmac_f64_e32 v[42:43], v[42:43], v[32:33]
	v_fma_f64 v[32:33], -v[40:41], v[42:43], 1.0
	v_fmac_f64_e32 v[42:43], v[42:43], v[32:33]
	v_div_scale_f64 v[32:33], vcc, v[30:31], v[38:39], v[30:31]
	v_cndmask_b32_e64 v93, v248, v34, s[34:35]
	v_cndmask_b32_e64 v100, v249, v35, s[34:35]
	v_mul_f64 v[34:35], v[32:33], v[42:43]
	v_fma_f64 v[32:33], -v[40:41], v[34:35], v[32:33]
	v_div_fmas_f64 v[32:33], v[32:33], v[42:43], v[34:35]
	v_div_fixup_f64 v[30:31], v[32:33], v[38:39], v[30:31]
	v_add_f64 v[32:33], -v[30:31], 1.0
	v_mul_f64 v[4:5], v[4:5], v[32:33]
	v_fmac_f64_e32 v[4:5], v[36:37], v[30:31]
	v_cmp_eq_u32_e32 vcc, 4, v20
	v_cndmask_b32_e64 v57, v110, v44, s[50:51]
	v_cndmask_b32_e64 v86, v252, v44, s[28:29]
	;; [unrolled: 1-line block ×5, first 2 shown]
	v_cndmask_b32_e32 v35, v46, v5, vcc
	v_cndmask_b32_e32 v34, v29, v4, vcc
	v_cmp_eq_u32_e64 s[28:29], 3, v20
	v_cmp_eq_u32_e64 s[34:35], 2, v20
	;; [unrolled: 1-line block ×4, first 2 shown]
	v_cndmask_b32_e64 v102, v75, v4, s[42:43]
	v_cndmask_b32_e64 v103, v78, v5, s[42:43]
	s_waitcnt vmcnt(0)
	buffer_store_dword v74, off, s[0:3], 0 offset:84
	buffer_store_dword v26, off, s[0:3], 0 offset:96 ; 4-byte Folded Spill
	s_nop 0
	buffer_store_dword v27, off, s[0:3], 0 offset:100 ; 4-byte Folded Spill
	buffer_store_dword v28, off, s[0:3], 0 offset:104 ; 4-byte Folded Spill
	buffer_store_dword v29, off, s[0:3], 0 offset:108 ; 4-byte Folded Spill
	buffer_store_dword v30, off, s[0:3], 0 offset:112 ; 4-byte Folded Spill
	buffer_store_dword v31, off, s[0:3], 0 offset:116 ; 4-byte Folded Spill
	buffer_store_dword v32, off, s[0:3], 0 offset:120 ; 4-byte Folded Spill
	buffer_store_dword v33, off, s[0:3], 0 offset:124 ; 4-byte Folded Spill
	buffer_store_dword v34, off, s[0:3], 0 offset:128 ; 4-byte Folded Spill
	buffer_store_dword v35, off, s[0:3], 0 offset:132 ; 4-byte Folded Spill
	buffer_store_dword v36, off, s[0:3], 0 offset:136 ; 4-byte Folded Spill
	buffer_store_dword v37, off, s[0:3], 0 offset:140 ; 4-byte Folded Spill
	buffer_store_dword v38, off, s[0:3], 0 offset:144 ; 4-byte Folded Spill
	buffer_store_dword v39, off, s[0:3], 0 offset:148 ; 4-byte Folded Spill
	buffer_store_dword v40, off, s[0:3], 0 offset:152 ; 4-byte Folded Spill
	buffer_store_dword v41, off, s[0:3], 0 offset:156 ; 4-byte Folded Spill
	buffer_store_dword v42, off, s[0:3], 0 offset:160 ; 4-byte Folded Spill
	buffer_store_dword v43, off, s[0:3], 0 offset:164 ; 4-byte Folded Spill
	buffer_store_dword v44, off, s[0:3], 0 offset:168 ; 4-byte Folded Spill
	buffer_store_dword v45, off, s[0:3], 0 offset:172 ; 4-byte Folded Spill
	buffer_store_dword v46, off, s[0:3], 0 offset:176 ; 4-byte Folded Spill
	buffer_store_dword v47, off, s[0:3], 0 offset:180 ; 4-byte Folded Spill
	buffer_store_dword v48, off, s[0:3], 0 offset:184 ; 4-byte Folded Spill
	buffer_store_dword v49, off, s[0:3], 0 offset:188 ; 4-byte Folded Spill
	buffer_store_dword v50, off, s[0:3], 0 offset:192 ; 4-byte Folded Spill
	buffer_store_dword v51, off, s[0:3], 0 offset:196 ; 4-byte Folded Spill
	buffer_store_dword v52, off, s[0:3], 0 offset:200 ; 4-byte Folded Spill
	buffer_store_dword v53, off, s[0:3], 0 offset:204 ; 4-byte Folded Spill
	buffer_store_dword v54, off, s[0:3], 0 offset:208 ; 4-byte Folded Spill
	buffer_store_dword v55, off, s[0:3], 0 offset:212 ; 4-byte Folded Spill
	buffer_store_dword v56, off, s[0:3], 0 offset:216 ; 4-byte Folded Spill
	buffer_store_dword v57, off, s[0:3], 0 offset:220 ; 4-byte Folded Spill
	v_cndmask_b32_e64 v35, v48, v5, s[28:29]
	v_cndmask_b32_e64 v34, v47, v4, s[28:29]
	buffer_store_dword v28, off, s[0:3], 0 offset:224 ; 4-byte Folded Spill
	s_nop 0
	buffer_store_dword v29, off, s[0:3], 0 offset:228 ; 4-byte Folded Spill
	buffer_store_dword v30, off, s[0:3], 0 offset:232 ; 4-byte Folded Spill
	;; [unrolled: 1-line block ×31, first 2 shown]
	v_cndmask_b32_e64 v29, v84, v83, s[24:25]
	v_cndmask_b32_e64 v29, v29, v82, s[26:27]
	;; [unrolled: 1-line block ×6, first 2 shown]
	v_accvgpr_write_b32 a251, v35
	v_cndmask_b32_e64 v29, v29, v25, s[40:41]
	v_accvgpr_write_b32 a250, v34
	v_cndmask_b32_e64 v35, v77, v5, s[38:39]
	v_cndmask_b32_e64 v29, v29, v26, s[44:45]
	;; [unrolled: 1-line block ×3, first 2 shown]
	v_accvgpr_write_b32 a255, v35
	v_cndmask_b32_e64 v29, v29, v27, s[46:47]
	v_accvgpr_write_b32 a254, v34
	v_cndmask_b32_e64 v35, v29, v28, s[48:49]
	v_cndmask_b32_e64 v29, v81, v80, s[24:25]
	;; [unrolled: 1-line block ×31, first 2 shown]
	v_mul_f64 v[36:37], v[36:37], v[32:33]
	v_cndmask_b32_e64 v29, v29, v59, s[46:47]
	v_fmac_f64_e32 v[36:37], v[34:35], v[30:31]
	v_cndmask_b32_e64 v35, v29, v58, s[48:49]
	v_cndmask_b32_e64 v29, v44, v86, s[24:25]
	;; [unrolled: 1-line block ×31, first 2 shown]
	v_mul_f64 v[38:39], v[38:39], v[32:33]
	v_cndmask_b32_e64 v29, v29, v70, s[46:47]
	v_fmac_f64_e32 v[38:39], v[34:35], v[30:31]
	v_cndmask_b32_e64 v35, v29, v69, s[48:49]
	v_cndmask_b32_e64 v29, v93, v92, s[24:25]
	;; [unrolled: 1-line block ×25, first 2 shown]
	v_mul_f64 v[42:43], v[40:41], v[32:33]
	v_fmac_f64_e32 v[42:43], v[34:35], v[30:31]
	v_cndmask_b32_e32 v31, v50, v37, vcc
	v_cndmask_b32_e32 v30, v49, v36, vcc
	buffer_store_dword v22, off, s[0:3], 0 offset:608 ; 4-byte Folded Spill
	s_nop 0
	buffer_store_dword v23, off, s[0:3], 0 offset:612 ; 4-byte Folded Spill
	buffer_store_dword v24, off, s[0:3], 0 offset:616 ; 4-byte Folded Spill
	;; [unrolled: 1-line block ×31, first 2 shown]
	v_cmp_eq_u32_e64 s[12:13], 8, v20
	v_cndmask_b32_e64 v19, v19, v5, s[12:13]
	v_cmp_eq_u32_e64 s[8:9], 6, v20
	v_cmp_eq_u32_e64 s[10:11], 5, v20
	v_accvgpr_write_b32 a205, v19
	v_cndmask_b32_e64 v31, v53, v37, s[28:29]
	v_cndmask_b32_e64 v30, v52, v36, s[28:29]
	buffer_store_dword v24, off, s[0:3], 0 offset:352 ; 4-byte Folded Spill
	s_nop 0
	buffer_store_dword v25, off, s[0:3], 0 offset:356 ; 4-byte Folded Spill
	buffer_store_dword v26, off, s[0:3], 0 offset:360 ; 4-byte Folded Spill
	;; [unrolled: 1-line block ×31, first 2 shown]
	v_cndmask_b32_e64 v31, v82, v37, s[34:35]
	v_cndmask_b32_e64 v30, v79, v36, s[34:35]
	v_accvgpr_write_b32 a243, v31
	v_accvgpr_write_b32 a242, v30
	v_cndmask_b32_e64 v31, v83, v37, s[38:39]
	v_cndmask_b32_e64 v30, v80, v36, s[38:39]
	v_accvgpr_write_b32 a249, v31
	v_accvgpr_write_b32 a248, v30
	;; [unrolled: 4-line block ×3, first 2 shown]
	v_cndmask_b32_e64 v41, v65, v39, s[28:29]
	v_cndmask_b32_e64 v40, v64, v38, s[28:29]
	;; [unrolled: 1-line block ×5, first 2 shown]
	v_cndmask_b32_e32 v75, v63, v39, vcc
	v_cndmask_b32_e32 v74, v62, v38, vcc
	v_cndmask_b32_e64 v255, v87, v39, s[34:35]
	v_cndmask_b32_e64 v254, v85, v38, s[34:35]
	;; [unrolled: 1-line block ×6, first 2 shown]
	v_cndmask_b32_e32 v133, v94, v43, vcc
	v_cndmask_b32_e32 v132, v89, v42, vcc
	v_cndmask_b32_e64 v99, v95, v43, s[28:29]
	v_cndmask_b32_e64 v98, v90, v42, s[28:29]
	;; [unrolled: 1-line block ×6, first 2 shown]
	v_cmp_eq_u32_e32 vcc, 7, v20
	buffer_store_dword v14, off, s[0:3], 0 offset:1760 ; 4-byte Folded Spill
	s_nop 0
	buffer_store_dword v15, off, s[0:3], 0 offset:1764 ; 4-byte Folded Spill
	buffer_store_dword v16, off, s[0:3], 0 offset:1768 ; 4-byte Folded Spill
	;; [unrolled: 1-line block ×31, first 2 shown]
	v_cndmask_b32_e32 v19, v18, v5, vcc
	v_cndmask_b32_e32 v18, v9, v4, vcc
	v_accvgpr_write_b32 a169, v19
	buffer_store_dword v4, off, s[0:3], 0 offset:1888 ; 4-byte Folded Spill
	s_nop 0
	buffer_store_dword v5, off, s[0:3], 0 offset:1892 ; 4-byte Folded Spill
	buffer_store_dword v6, off, s[0:3], 0 offset:1896 ; 4-byte Folded Spill
	;; [unrolled: 1-line block ×31, first 2 shown]
	v_cndmask_b32_e64 v146, v56, v38, s[8:9]
	v_cndmask_b32_e64 v110, v57, v38, s[10:11]
	v_cndmask_b32_e32 v170, v66, v42, vcc
	v_cndmask_b32_e64 v184, v67, v42, s[8:9]
	v_cndmask_b32_e64 v226, v68, v42, s[10:11]
	;; [unrolled: 1-line block ×4, first 2 shown]
	v_accvgpr_write_b32 a117, v17
	buffer_store_dword v6, off, s[0:3], 0 offset:2016 ; 4-byte Folded Spill
	s_nop 0
	buffer_store_dword v7, off, s[0:3], 0 offset:2020 ; 4-byte Folded Spill
	buffer_store_dword v8, off, s[0:3], 0 offset:2024 ; 4-byte Folded Spill
	;; [unrolled: 1-line block ×31, first 2 shown]
	v_cndmask_b32_e64 v13, v15, v5, s[10:11]
	v_cndmask_b32_e64 v14, v14, v4, s[10:11]
	v_accvgpr_write_b32 a217, v13
	buffer_store_dword v4, off, s[0:3], 0 offset:2144 ; 4-byte Folded Spill
	s_nop 0
	buffer_store_dword v5, off, s[0:3], 0 offset:2148 ; 4-byte Folded Spill
	buffer_store_dword v6, off, s[0:3], 0 offset:2152 ; 4-byte Folded Spill
	;; [unrolled: 1-line block ×31, first 2 shown]
	v_cndmask_b32_e64 v17, v28, v37, s[12:13]
	buffer_store_dword v0, off, s[0:3], 0 offset:1248 ; 4-byte Folded Spill
	s_nop 0
	buffer_store_dword v1, off, s[0:3], 0 offset:1252 ; 4-byte Folded Spill
	buffer_store_dword v2, off, s[0:3], 0 offset:1256 ; 4-byte Folded Spill
	;; [unrolled: 1-line block ×31, first 2 shown]
	v_cndmask_b32_e64 v18, v24, v36, s[12:13]
	v_cndmask_b32_e32 v15, v27, v37, vcc
	v_accvgpr_write_b32 a58, v18
	buffer_store_dword v0, off, s[0:3], 0 offset:1632 ; 4-byte Folded Spill
	s_nop 0
	buffer_store_dword v1, off, s[0:3], 0 offset:1636 ; 4-byte Folded Spill
	buffer_store_dword v2, off, s[0:3], 0 offset:1640 ; 4-byte Folded Spill
	;; [unrolled: 1-line block ×31, first 2 shown]
	v_cndmask_b32_e32 v14, v23, v36, vcc
	buffer_store_dword v0, off, s[0:3], 0 offset:1120 ; 4-byte Folded Spill
	s_nop 0
	buffer_store_dword v1, off, s[0:3], 0 offset:1124 ; 4-byte Folded Spill
	buffer_store_dword v2, off, s[0:3], 0 offset:1128 ; 4-byte Folded Spill
	;; [unrolled: 1-line block ×31, first 2 shown]
	v_cndmask_b32_e64 v13, v26, v37, s[8:9]
	v_cndmask_b32_e64 v14, v22, v36, s[8:9]
	v_accvgpr_write_b32 a13, v13
	buffer_store_dword v2, off, s[0:3], 0 offset:1376 ; 4-byte Folded Spill
	s_nop 0
	buffer_store_dword v3, off, s[0:3], 0 offset:1380 ; 4-byte Folded Spill
	buffer_store_dword v4, off, s[0:3], 0 offset:1384 ; 4-byte Folded Spill
	;; [unrolled: 1-line block ×31, first 2 shown]
	v_cndmask_b32_e64 v13, v25, v37, s[10:11]
	v_cndmask_b32_e64 v14, v21, v36, s[10:11]
	v_accvgpr_write_b32 a25, v13
	buffer_store_dword v4, off, s[0:3], 0 offset:1504 ; 4-byte Folded Spill
	s_nop 0
	buffer_store_dword v5, off, s[0:3], 0 offset:1508 ; 4-byte Folded Spill
	buffer_store_dword v6, off, s[0:3], 0 offset:1512 ; 4-byte Folded Spill
	;; [unrolled: 1-line block ×31, first 2 shown]
	v_cndmask_b32_e64 v17, v58, v39, s[12:13]
	buffer_store_dword v0, off, s[0:3], 0 offset:736 ; 4-byte Folded Spill
	s_nop 0
	buffer_store_dword v1, off, s[0:3], 0 offset:740 ; 4-byte Folded Spill
	buffer_store_dword v2, off, s[0:3], 0 offset:744 ; 4-byte Folded Spill
	;; [unrolled: 1-line block ×31, first 2 shown]
	v_cndmask_b32_e64 v18, v54, v38, s[12:13]
	buffer_store_dword v2, off, s[0:3], 0 offset:480 ; 4-byte Folded Spill
	s_nop 0
	buffer_store_dword v3, off, s[0:3], 0 offset:484 ; 4-byte Folded Spill
	buffer_store_dword v4, off, s[0:3], 0 offset:488 ; 4-byte Folded Spill
	;; [unrolled: 1-line block ×31, first 2 shown]
	v_cndmask_b32_e32 v15, v59, v39, vcc
	buffer_store_dword v0, off, s[0:3], 0 offset:992 ; 4-byte Folded Spill
	s_nop 0
	buffer_store_dword v1, off, s[0:3], 0 offset:996 ; 4-byte Folded Spill
	buffer_store_dword v2, off, s[0:3], 0 offset:1000 ; 4-byte Folded Spill
	;; [unrolled: 1-line block ×31, first 2 shown]
	v_cndmask_b32_e32 v14, v55, v38, vcc
	buffer_store_dword v0, off, s[0:3], 0 offset:864 ; 4-byte Folded Spill
	s_nop 0
	buffer_store_dword v1, off, s[0:3], 0 offset:868 ; 4-byte Folded Spill
	buffer_store_dword v2, off, s[0:3], 0 offset:872 ; 4-byte Folded Spill
	;; [unrolled: 1-line block ×31, first 2 shown]
	v_cndmask_b32_e64 v13, v60, v39, s[8:9]
	v_accvgpr_write_b32 a141, v13
	v_cndmask_b32_e64 v13, v61, v39, s[10:11]
	v_accvgpr_write_b32 a153, v13
	v_cndmask_b32_e64 v13, v71, v43, s[8:9]
	v_cndmask_b32_e64 v17, v69, v43, s[12:13]
	v_cndmask_b32_e32 v15, v70, v43, vcc
	v_accvgpr_write_b32 a187, v13
	v_cndmask_b32_e64 v13, v72, v43, s[10:11]
	v_accvgpr_write_b32 a75, v17
	v_accvgpr_write_b32 a91, v15
	;; [unrolled: 1-line block ×3, first 2 shown]
	v_cndmask_b32_e64 v16, v16, v42, s[12:13]
.LBB2_26:
	s_or_b64 exec, exec, s[56:57]
	s_mov_b64 s[8:9], 0
	buffer_store_dword v8, off, s[0:3], 0 offset:80
	s_mov_b64 s[20:21], exec
	v_accvgpr_read_b32 v28, a242
	v_accvgpr_read_b32 v26, a248
	;; [unrolled: 1-line block ×3, first 2 shown]
	s_and_b64 s[4:5], s[20:21], s[4:5]
	v_accvgpr_read_b32 v29, a243
	v_accvgpr_read_b32 v27, a249
	;; [unrolled: 1-line block ×3, first 2 shown]
	s_mov_b64 exec, s[4:5]
	s_cbranch_execz .LBB2_36
; %bb.27:
	s_mov_b64 s[22:23], 0
	v_cmp_gt_f64_e32 vcc, 0, v[2:3]
	s_branch .LBB2_29
.LBB2_28:                               ;   in Loop: Header=BB2_29 Depth=1
	s_or_b64 exec, exec, s[4:5]
	s_waitcnt vmcnt(0)
	v_cmp_gt_i32_e64 s[4:5], 0, v2
	s_or_b64 s[22:23], s[4:5], s[22:23]
	v_mov_b32_e32 v10, v2
	s_andn2_b64 exec, exec, s[22:23]
	s_cbranch_execz .LBB2_35
.LBB2_29:                               ; =>This Inner Loop Header: Depth=1
	buffer_load_dword a26, off, s[0:3], 0 offset:224 ; 4-byte Folded Reload
	buffer_load_dword a27, off, s[0:3], 0 offset:228 ; 4-byte Folded Reload
	;; [unrolled: 1-line block ×32, first 2 shown]
	v_cmp_eq_u32_e64 s[4:5], 1, v10
	v_accvgpr_read_b32 v8, a254
	v_cmp_eq_u32_e64 s[8:9], 2, v10
	v_accvgpr_read_b32 v4, a250
	v_cndmask_b32_e64 v3, v102, v8, s[4:5]
	v_cmp_eq_u32_e64 s[10:11], 3, v10
	v_cndmask_b32_e64 v3, v3, v4, s[8:9]
	v_cmp_eq_u32_e64 s[12:13], 4, v10
	v_cmp_eq_u32_e64 s[14:15], 5, v10
	;; [unrolled: 1-line block ×4, first 2 shown]
	v_accvgpr_read_b32 v9, a255
	v_cndmask_b32_e64 v2, v103, v9, s[4:5]
	v_accvgpr_read_b32 v5, a251
	v_cndmask_b32_e64 v2, v2, v5, s[8:9]
	v_accvgpr_read_b32 v13, a217
	v_cmp_eq_u32_e64 s[4:5], 8, v10
	v_accvgpr_read_b32 v17, a205
	s_mov_b64 s[8:9], 0
	s_waitcnt vmcnt(24)
	v_accvgpr_read_b32 v14, a32
	v_accvgpr_read_b32 v15, a33
	buffer_load_dword a26, off, s[0:3], 0 offset:96 ; 4-byte Folded Reload
	buffer_load_dword a27, off, s[0:3], 0 offset:100 ; 4-byte Folded Reload
	;; [unrolled: 1-line block ×64, first 2 shown]
	v_cndmask_b32_e64 v3, v3, v14, s[10:11]
	v_cndmask_b32_e64 v2, v2, v15, s[10:11]
	v_accvgpr_read_b32 v15, a169
	s_waitcnt vmcnt(54)
	v_accvgpr_read_b32 v18, a34
	v_cndmask_b32_e64 v3, v3, v18, s[12:13]
	s_waitcnt vmcnt(21)
	v_cndmask_b32_e64 v3, v3, v52, s[14:15]
	buffer_load_dword v42, off, s[0:3], 0 offset:2016 ; 4-byte Folded Reload
	buffer_load_dword v43, off, s[0:3], 0 offset:2020 ; 4-byte Folded Reload
	;; [unrolled: 1-line block ×32, first 2 shown]
	v_accvgpr_read_b32 v19, a35
	v_cndmask_b32_e64 v2, v2, v19, s[12:13]
	v_cndmask_b32_e64 v2, v2, v13, s[14:15]
	v_accvgpr_read_b32 v13, a117
	v_cndmask_b32_e64 v2, v2, v13, s[16:17]
	v_cndmask_b32_e64 v2, v2, v15, s[18:19]
	s_waitcnt vmcnt(19)
	v_cndmask_b32_e64 v3, v3, v54, s[16:17]
	buffer_load_dword v42, off, s[0:3], 0 offset:1888 ; 4-byte Folded Reload
	buffer_load_dword v43, off, s[0:3], 0 offset:1892 ; 4-byte Folded Reload
	;; [unrolled: 1-line block ×32, first 2 shown]
	s_waitcnt vmcnt(17)
	v_cndmask_b32_e64 v4, v3, v56, s[18:19]
	buffer_load_dword v42, off, s[0:3], 0 offset:1760 ; 4-byte Folded Reload
	buffer_load_dword v43, off, s[0:3], 0 offset:1764 ; 4-byte Folded Reload
	buffer_load_dword v44, off, s[0:3], 0 offset:1768 ; 4-byte Folded Reload
	buffer_load_dword v45, off, s[0:3], 0 offset:1772 ; 4-byte Folded Reload
	buffer_load_dword v46, off, s[0:3], 0 offset:1776 ; 4-byte Folded Reload
	buffer_load_dword v47, off, s[0:3], 0 offset:1780 ; 4-byte Folded Reload
	buffer_load_dword v48, off, s[0:3], 0 offset:1784 ; 4-byte Folded Reload
	buffer_load_dword v49, off, s[0:3], 0 offset:1788 ; 4-byte Folded Reload
	buffer_load_dword v50, off, s[0:3], 0 offset:1792 ; 4-byte Folded Reload
	buffer_load_dword v51, off, s[0:3], 0 offset:1796 ; 4-byte Folded Reload
	buffer_load_dword v52, off, s[0:3], 0 offset:1800 ; 4-byte Folded Reload
	buffer_load_dword v53, off, s[0:3], 0 offset:1804 ; 4-byte Folded Reload
	buffer_load_dword v54, off, s[0:3], 0 offset:1808 ; 4-byte Folded Reload
	buffer_load_dword v55, off, s[0:3], 0 offset:1812 ; 4-byte Folded Reload
	buffer_load_dword v56, off, s[0:3], 0 offset:1816 ; 4-byte Folded Reload
	buffer_load_dword v57, off, s[0:3], 0 offset:1820 ; 4-byte Folded Reload
	buffer_load_dword v58, off, s[0:3], 0 offset:1824 ; 4-byte Folded Reload
	buffer_load_dword v59, off, s[0:3], 0 offset:1828 ; 4-byte Folded Reload
	buffer_load_dword v60, off, s[0:3], 0 offset:1832 ; 4-byte Folded Reload
	buffer_load_dword v61, off, s[0:3], 0 offset:1836 ; 4-byte Folded Reload
	buffer_load_dword v62, off, s[0:3], 0 offset:1840 ; 4-byte Folded Reload
	buffer_load_dword v63, off, s[0:3], 0 offset:1844 ; 4-byte Folded Reload
	buffer_load_dword v64, off, s[0:3], 0 offset:1848 ; 4-byte Folded Reload
	buffer_load_dword v65, off, s[0:3], 0 offset:1852 ; 4-byte Folded Reload
	buffer_load_dword v66, off, s[0:3], 0 offset:1856 ; 4-byte Folded Reload
	buffer_load_dword v67, off, s[0:3], 0 offset:1860 ; 4-byte Folded Reload
	buffer_load_dword v68, off, s[0:3], 0 offset:1864 ; 4-byte Folded Reload
	buffer_load_dword v69, off, s[0:3], 0 offset:1868 ; 4-byte Folded Reload
	buffer_load_dword v70, off, s[0:3], 0 offset:1872 ; 4-byte Folded Reload
	buffer_load_dword v71, off, s[0:3], 0 offset:1876 ; 4-byte Folded Reload
	buffer_load_dword v72, off, s[0:3], 0 offset:1880 ; 4-byte Folded Reload
	buffer_load_dword v73, off, s[0:3], 0 offset:1884 ; 4-byte Folded Reload
	v_cndmask_b32_e64 v3, v2, v17, s[4:5]
	s_waitcnt vmcnt(15)
	v_cndmask_b32_e64 v2, v4, v58, s[4:5]
	v_lshl_add_u32 v4, v10, 2, v209
	v_cmp_ngt_f64_e64 s[4:5], 0, v[2:3]
	buffer_load_dword v2, v4, s[0:3], 0 offen
                                        ; implicit-def: $vgpr3
	s_and_saveexec_b64 s[10:11], s[4:5]
	s_xor_b64 s[10:11], exec, s[10:11]
	s_cbranch_execnz .LBB2_32
; %bb.30:                               ;   in Loop: Header=BB2_29 Depth=1
	s_andn2_saveexec_b64 s[4:5], s[10:11]
	s_cbranch_execnz .LBB2_33
.LBB2_31:                               ;   in Loop: Header=BB2_29 Depth=1
	s_or_b64 exec, exec, s[4:5]
	s_and_saveexec_b64 s[4:5], s[8:9]
	s_cbranch_execz .LBB2_28
	s_branch .LBB2_34
.LBB2_32:                               ;   in Loop: Header=BB2_29 Depth=1
	buffer_load_dword v3, off, s[0:3], 0 offset:80
                                        ; implicit-def: $vgpr4
	s_waitcnt vmcnt(0)
	v_cmp_eq_u32_e64 s[4:5], -1, v3
	v_mov_b32_e32 v3, 0x50
	s_and_b64 s[8:9], s[4:5], exec
	s_andn2_saveexec_b64 s[4:5], s[10:11]
	s_cbranch_execz .LBB2_31
.LBB2_33:                               ;   in Loop: Header=BB2_29 Depth=1
	buffer_load_dword v5, off, s[0:3], 0 offset:84
	v_mov_b32_e32 v3, 0x54
	s_or_b64 s[8:9], s[8:9], exec
	s_waitcnt vmcnt(0)
	buffer_store_dword v5, v4, s[0:3], 0 offen
	s_or_b64 exec, exec, s[4:5]
	s_and_saveexec_b64 s[4:5], s[8:9]
	s_cbranch_execz .LBB2_28
.LBB2_34:                               ;   in Loop: Header=BB2_29 Depth=1
	buffer_store_dword v10, v3, s[0:3], 0 offen
	s_branch .LBB2_28
.LBB2_35:
	s_or_b64 exec, exec, s[22:23]
	s_and_b64 s[8:9], vcc, exec
.LBB2_36:
	s_or_b64 exec, exec, s[20:21]
	s_and_saveexec_b64 s[4:5], s[6:7]
	s_cbranch_execz .LBB2_38
; %bb.37:
	v_mov_b32_e32 v2, 0
	v_cmp_gt_f64_e32 vcc, 0, v[0:1]
	v_lshl_add_u32 v3, v20, 2, v2
	s_or_b64 s[6:7], vcc, s[8:9]
	v_lshl_add_u32 v1, v7, 2, v2
	v_lshl_add_u32 v2, v11, 2, v2
	v_cndmask_b32_e64 v0, v12, -1, s[6:7]
	buffer_store_dword v7, v2, s[0:3], 0 offen offset:40
	buffer_store_dword v20, v1, s[0:3], 0 offen offset:40
	buffer_store_dword v0, v3, s[0:3], 0 offen offset:40
.LBB2_38:
	s_or_b64 exec, exec, s[4:5]
	buffer_load_dword v10, off, s[0:3], 0 offset:80
	buffer_load_dword a26, off, s[0:3], 0 offset:352 ; 4-byte Folded Reload
	buffer_load_dword a27, off, s[0:3], 0 offset:356 ; 4-byte Folded Reload
	buffer_load_dword a28, off, s[0:3], 0 offset:360 ; 4-byte Folded Reload
	buffer_load_dword a29, off, s[0:3], 0 offset:364 ; 4-byte Folded Reload
	buffer_load_dword a30, off, s[0:3], 0 offset:368 ; 4-byte Folded Reload
	buffer_load_dword a31, off, s[0:3], 0 offset:372 ; 4-byte Folded Reload
	buffer_load_dword a32, off, s[0:3], 0 offset:376 ; 4-byte Folded Reload
	buffer_load_dword a33, off, s[0:3], 0 offset:380 ; 4-byte Folded Reload
	buffer_load_dword a34, off, s[0:3], 0 offset:384 ; 4-byte Folded Reload
	buffer_load_dword a35, off, s[0:3], 0 offset:388 ; 4-byte Folded Reload
	buffer_load_dword a36, off, s[0:3], 0 offset:392 ; 4-byte Folded Reload
	buffer_load_dword a37, off, s[0:3], 0 offset:396 ; 4-byte Folded Reload
	buffer_load_dword a38, off, s[0:3], 0 offset:400 ; 4-byte Folded Reload
	buffer_load_dword a39, off, s[0:3], 0 offset:404 ; 4-byte Folded Reload
	buffer_load_dword a40, off, s[0:3], 0 offset:408 ; 4-byte Folded Reload
	buffer_load_dword a41, off, s[0:3], 0 offset:412 ; 4-byte Folded Reload
	buffer_load_dword a42, off, s[0:3], 0 offset:416 ; 4-byte Folded Reload
	buffer_load_dword a43, off, s[0:3], 0 offset:420 ; 4-byte Folded Reload
	buffer_load_dword a44, off, s[0:3], 0 offset:424 ; 4-byte Folded Reload
	buffer_load_dword a45, off, s[0:3], 0 offset:428 ; 4-byte Folded Reload
	buffer_load_dword a46, off, s[0:3], 0 offset:432 ; 4-byte Folded Reload
	buffer_load_dword a47, off, s[0:3], 0 offset:436 ; 4-byte Folded Reload
	buffer_load_dword a48, off, s[0:3], 0 offset:440 ; 4-byte Folded Reload
	buffer_load_dword a49, off, s[0:3], 0 offset:444 ; 4-byte Folded Reload
	buffer_load_dword a50, off, s[0:3], 0 offset:448 ; 4-byte Folded Reload
	buffer_load_dword a51, off, s[0:3], 0 offset:452 ; 4-byte Folded Reload
	buffer_load_dword a52, off, s[0:3], 0 offset:456 ; 4-byte Folded Reload
	buffer_load_dword a53, off, s[0:3], 0 offset:460 ; 4-byte Folded Reload
	buffer_load_dword a54, off, s[0:3], 0 offset:464 ; 4-byte Folded Reload
	buffer_load_dword a55, off, s[0:3], 0 offset:468 ; 4-byte Folded Reload
	buffer_load_dword a56, off, s[0:3], 0 offset:472 ; 4-byte Folded Reload
	buffer_load_dword a57, off, s[0:3], 0 offset:476 ; 4-byte Folded Reload
	buffer_load_dword v42, off, s[0:3], 0 offset:608 ; 4-byte Folded Reload
	buffer_load_dword v43, off, s[0:3], 0 offset:612 ; 4-byte Folded Reload
	buffer_load_dword v44, off, s[0:3], 0 offset:616 ; 4-byte Folded Reload
	buffer_load_dword v45, off, s[0:3], 0 offset:620 ; 4-byte Folded Reload
	buffer_load_dword v46, off, s[0:3], 0 offset:624 ; 4-byte Folded Reload
	buffer_load_dword v47, off, s[0:3], 0 offset:628 ; 4-byte Folded Reload
	buffer_load_dword v48, off, s[0:3], 0 offset:632 ; 4-byte Folded Reload
	buffer_load_dword v49, off, s[0:3], 0 offset:636 ; 4-byte Folded Reload
	buffer_load_dword v50, off, s[0:3], 0 offset:640 ; 4-byte Folded Reload
	buffer_load_dword v51, off, s[0:3], 0 offset:644 ; 4-byte Folded Reload
	buffer_load_dword v52, off, s[0:3], 0 offset:648 ; 4-byte Folded Reload
	buffer_load_dword v53, off, s[0:3], 0 offset:652 ; 4-byte Folded Reload
	buffer_load_dword v54, off, s[0:3], 0 offset:656 ; 4-byte Folded Reload
	buffer_load_dword v55, off, s[0:3], 0 offset:660 ; 4-byte Folded Reload
	buffer_load_dword v56, off, s[0:3], 0 offset:664 ; 4-byte Folded Reload
	buffer_load_dword v57, off, s[0:3], 0 offset:668 ; 4-byte Folded Reload
	buffer_load_dword v58, off, s[0:3], 0 offset:672 ; 4-byte Folded Reload
	buffer_load_dword v59, off, s[0:3], 0 offset:676 ; 4-byte Folded Reload
	buffer_load_dword v60, off, s[0:3], 0 offset:680 ; 4-byte Folded Reload
	buffer_load_dword v61, off, s[0:3], 0 offset:684 ; 4-byte Folded Reload
	buffer_load_dword v62, off, s[0:3], 0 offset:688 ; 4-byte Folded Reload
	buffer_load_dword v63, off, s[0:3], 0 offset:692 ; 4-byte Folded Reload
	buffer_load_dword v64, off, s[0:3], 0 offset:696 ; 4-byte Folded Reload
	buffer_load_dword v65, off, s[0:3], 0 offset:700 ; 4-byte Folded Reload
	buffer_load_dword v66, off, s[0:3], 0 offset:704 ; 4-byte Folded Reload
	buffer_load_dword v67, off, s[0:3], 0 offset:708 ; 4-byte Folded Reload
	buffer_load_dword v68, off, s[0:3], 0 offset:712 ; 4-byte Folded Reload
	buffer_load_dword v69, off, s[0:3], 0 offset:716 ; 4-byte Folded Reload
	buffer_load_dword v70, off, s[0:3], 0 offset:720 ; 4-byte Folded Reload
	buffer_load_dword v71, off, s[0:3], 0 offset:724 ; 4-byte Folded Reload
	buffer_load_dword v72, off, s[0:3], 0 offset:728 ; 4-byte Folded Reload
	buffer_load_dword v73, off, s[0:3], 0 offset:732 ; 4-byte Folded Reload
	v_accvgpr_read_b32 v11, a25
	v_accvgpr_read_b32 v13, a13
	;; [unrolled: 1-line block ×3, first 2 shown]
	v_pk_mov_b32 v[4:5], -1, -1
	v_mov_b32_e32 v12, -1
	s_waitcnt vmcnt(62)
	v_cmp_eq_u32_e32 vcc, 1, v10
	v_cmp_eq_u32_e64 s[4:5], 2, v10
	s_waitcnt vmcnt(22)
	v_pk_mov_b32 v[8:9], v[50:51], v[50:51] op_sel:[0,1]
	buffer_load_dword v42, off, s[0:3], 0 offset:1504 ; 4-byte Folded Reload
	buffer_load_dword v43, off, s[0:3], 0 offset:1508 ; 4-byte Folded Reload
	;; [unrolled: 1-line block ×32, first 2 shown]
	v_cndmask_b32_e32 v1, v104, v26, vcc
	v_cmp_eq_u32_e64 s[6:7], 3, v10
	v_accvgpr_read_b32 v6, a32
	v_cndmask_b32_e64 v1, v1, v28, s[4:5]
	v_cndmask_b32_e32 v0, v105, v27, vcc
	v_cmp_eq_u32_e32 vcc, 4, v10
	v_cndmask_b32_e64 v1, v1, v6, s[6:7]
	v_cndmask_b32_e64 v0, v0, v29, s[4:5]
	v_cmp_eq_u32_e64 s[4:5], 5, v10
	v_cndmask_b32_e32 v1, v1, v8, vcc
	v_accvgpr_read_b32 v7, a33
	v_cndmask_b32_e64 v0, v0, v7, s[6:7]
	v_cndmask_b32_e32 v0, v0, v9, vcc
	v_cndmask_b32_e64 v0, v0, v11, s[4:5]
	v_cmp_eq_u32_e32 vcc, 6, v10
	v_cndmask_b32_e32 v0, v0, v13, vcc
	v_mov_b32_e32 v11, -1
	v_pk_mov_b32 v[6:7], v[4:5], v[4:5] op_sel:[0,1]
	s_waitcnt vmcnt(21)
	v_cndmask_b32_e64 v1, v1, v52, s[4:5]
	buffer_load_dword v42, off, s[0:3], 0 offset:1632 ; 4-byte Folded Reload
	buffer_load_dword v43, off, s[0:3], 0 offset:1636 ; 4-byte Folded Reload
	;; [unrolled: 1-line block ×32, first 2 shown]
	v_cmp_eq_u32_e64 s[4:5], 7, v10
	s_waitcnt vmcnt(16)
	v_cndmask_b32_e64 v0, v0, v57, s[4:5]
	buffer_load_dword v42, off, s[0:3], 0 offset:1376 ; 4-byte Folded Reload
	buffer_load_dword v43, off, s[0:3], 0 offset:1380 ; 4-byte Folded Reload
	;; [unrolled: 1-line block ×32, first 2 shown]
	s_waitcnt vmcnt(19)
	v_cndmask_b32_e32 v1, v1, v54, vcc
	buffer_load_dword v42, off, s[0:3], 0 offset:1120 ; 4-byte Folded Reload
	buffer_load_dword v43, off, s[0:3], 0 offset:1124 ; 4-byte Folded Reload
	;; [unrolled: 1-line block ×32, first 2 shown]
	v_cmp_eq_u32_e32 vcc, 8, v10
	s_waitcnt vmcnt(17)
	v_cndmask_b32_e64 v2, v1, v56, s[4:5]
	buffer_load_dword v42, off, s[0:3], 0 offset:1248 ; 4-byte Folded Reload
	buffer_load_dword v43, off, s[0:3], 0 offset:1252 ; 4-byte Folded Reload
	;; [unrolled: 1-line block ×32, first 2 shown]
	v_cmp_lt_i32_e64 s[4:5], -1, v10
	s_waitcnt vmcnt(14)
	v_cndmask_b32_e32 v1, v0, v59, vcc
	v_cndmask_b32_e32 v0, v2, v18, vcc
	v_pk_mov_b32 v[2:3], 0, 0
	s_and_saveexec_b64 s[14:15], s[4:5]
	s_cbranch_execz .LBB2_42
; %bb.39:
	buffer_load_dword a26, off, s[0:3], 0 offset:352 ; 4-byte Folded Reload
	buffer_load_dword a27, off, s[0:3], 0 offset:356 ; 4-byte Folded Reload
	;; [unrolled: 1-line block ×64, first 2 shown]
	s_mov_b64 s[16:17], 0
	v_mov_b32_e32 v11, -1
	v_mov_b32_e32 v5, v10
	v_mov_b32_e32 v4, -1
	v_mov_b32_e32 v6, -1
	;; [unrolled: 1-line block ×3, first 2 shown]
	v_pk_mov_b32 v[8:9], v[0:1], v[0:1] op_sel:[0,1]
	v_accvgpr_read_b32 v23, a13
	v_accvgpr_read_b32 v25, a25
	;; [unrolled: 1-line block ×3, first 2 shown]
	s_waitcnt vmcnt(56)
	v_accvgpr_read_b32 v18, a32
	s_waitcnt vmcnt(14)
	v_mov_b32_e32 v17, v59
	buffer_load_dword v42, off, s[0:3], 0 offset:1632 ; 4-byte Folded Reload
	buffer_load_dword v43, off, s[0:3], 0 offset:1636 ; 4-byte Folded Reload
	;; [unrolled: 1-line block ×32, first 2 shown]
	v_accvgpr_read_b32 v19, a33
	s_waitcnt vmcnt(16)
	v_mov_b32_e32 v21, v57
	buffer_load_dword v42, off, s[0:3], 0 offset:1120 ; 4-byte Folded Reload
	buffer_load_dword v43, off, s[0:3], 0 offset:1124 ; 4-byte Folded Reload
	buffer_load_dword v44, off, s[0:3], 0 offset:1128 ; 4-byte Folded Reload
	buffer_load_dword v45, off, s[0:3], 0 offset:1132 ; 4-byte Folded Reload
	buffer_load_dword v46, off, s[0:3], 0 offset:1136 ; 4-byte Folded Reload
	buffer_load_dword v47, off, s[0:3], 0 offset:1140 ; 4-byte Folded Reload
	buffer_load_dword v48, off, s[0:3], 0 offset:1144 ; 4-byte Folded Reload
	buffer_load_dword v49, off, s[0:3], 0 offset:1148 ; 4-byte Folded Reload
	buffer_load_dword v50, off, s[0:3], 0 offset:1152 ; 4-byte Folded Reload
	buffer_load_dword v51, off, s[0:3], 0 offset:1156 ; 4-byte Folded Reload
	buffer_load_dword v52, off, s[0:3], 0 offset:1160 ; 4-byte Folded Reload
	buffer_load_dword v53, off, s[0:3], 0 offset:1164 ; 4-byte Folded Reload
	buffer_load_dword v54, off, s[0:3], 0 offset:1168 ; 4-byte Folded Reload
	buffer_load_dword v55, off, s[0:3], 0 offset:1172 ; 4-byte Folded Reload
	buffer_load_dword v56, off, s[0:3], 0 offset:1176 ; 4-byte Folded Reload
	buffer_load_dword v57, off, s[0:3], 0 offset:1180 ; 4-byte Folded Reload
	buffer_load_dword v58, off, s[0:3], 0 offset:1184 ; 4-byte Folded Reload
	buffer_load_dword v59, off, s[0:3], 0 offset:1188 ; 4-byte Folded Reload
	buffer_load_dword v60, off, s[0:3], 0 offset:1192 ; 4-byte Folded Reload
	buffer_load_dword v61, off, s[0:3], 0 offset:1196 ; 4-byte Folded Reload
	buffer_load_dword v62, off, s[0:3], 0 offset:1200 ; 4-byte Folded Reload
	buffer_load_dword v63, off, s[0:3], 0 offset:1204 ; 4-byte Folded Reload
	buffer_load_dword v64, off, s[0:3], 0 offset:1208 ; 4-byte Folded Reload
	buffer_load_dword v65, off, s[0:3], 0 offset:1212 ; 4-byte Folded Reload
	buffer_load_dword v66, off, s[0:3], 0 offset:1216 ; 4-byte Folded Reload
	buffer_load_dword v67, off, s[0:3], 0 offset:1220 ; 4-byte Folded Reload
	buffer_load_dword v68, off, s[0:3], 0 offset:1224 ; 4-byte Folded Reload
	buffer_load_dword v69, off, s[0:3], 0 offset:1228 ; 4-byte Folded Reload
	buffer_load_dword v70, off, s[0:3], 0 offset:1232 ; 4-byte Folded Reload
	buffer_load_dword v71, off, s[0:3], 0 offset:1236 ; 4-byte Folded Reload
	buffer_load_dword v72, off, s[0:3], 0 offset:1240 ; 4-byte Folded Reload
	buffer_load_dword v73, off, s[0:3], 0 offset:1244 ; 4-byte Folded Reload
	s_waitcnt vmcnt(17)
	v_mov_b32_e32 v22, v56
	buffer_load_dword v42, off, s[0:3], 0 offset:608 ; 4-byte Folded Reload
	buffer_load_dword v43, off, s[0:3], 0 offset:612 ; 4-byte Folded Reload
	buffer_load_dword v44, off, s[0:3], 0 offset:616 ; 4-byte Folded Reload
	buffer_load_dword v45, off, s[0:3], 0 offset:620 ; 4-byte Folded Reload
	buffer_load_dword v46, off, s[0:3], 0 offset:624 ; 4-byte Folded Reload
	buffer_load_dword v47, off, s[0:3], 0 offset:628 ; 4-byte Folded Reload
	buffer_load_dword v48, off, s[0:3], 0 offset:632 ; 4-byte Folded Reload
	buffer_load_dword v49, off, s[0:3], 0 offset:636 ; 4-byte Folded Reload
	buffer_load_dword v50, off, s[0:3], 0 offset:640 ; 4-byte Folded Reload
	buffer_load_dword v51, off, s[0:3], 0 offset:644 ; 4-byte Folded Reload
	buffer_load_dword v52, off, s[0:3], 0 offset:648 ; 4-byte Folded Reload
	buffer_load_dword v53, off, s[0:3], 0 offset:652 ; 4-byte Folded Reload
	buffer_load_dword v54, off, s[0:3], 0 offset:656 ; 4-byte Folded Reload
	buffer_load_dword v55, off, s[0:3], 0 offset:660 ; 4-byte Folded Reload
	buffer_load_dword v56, off, s[0:3], 0 offset:664 ; 4-byte Folded Reload
	buffer_load_dword v57, off, s[0:3], 0 offset:668 ; 4-byte Folded Reload
	buffer_load_dword v58, off, s[0:3], 0 offset:672 ; 4-byte Folded Reload
	buffer_load_dword v59, off, s[0:3], 0 offset:676 ; 4-byte Folded Reload
	buffer_load_dword v60, off, s[0:3], 0 offset:680 ; 4-byte Folded Reload
	buffer_load_dword v61, off, s[0:3], 0 offset:684 ; 4-byte Folded Reload
	buffer_load_dword v62, off, s[0:3], 0 offset:688 ; 4-byte Folded Reload
	buffer_load_dword v63, off, s[0:3], 0 offset:692 ; 4-byte Folded Reload
	buffer_load_dword v64, off, s[0:3], 0 offset:696 ; 4-byte Folded Reload
	buffer_load_dword v65, off, s[0:3], 0 offset:700 ; 4-byte Folded Reload
	buffer_load_dword v66, off, s[0:3], 0 offset:704 ; 4-byte Folded Reload
	buffer_load_dword v67, off, s[0:3], 0 offset:708 ; 4-byte Folded Reload
	buffer_load_dword v68, off, s[0:3], 0 offset:712 ; 4-byte Folded Reload
	buffer_load_dword v69, off, s[0:3], 0 offset:716 ; 4-byte Folded Reload
	buffer_load_dword v70, off, s[0:3], 0 offset:720 ; 4-byte Folded Reload
	buffer_load_dword v71, off, s[0:3], 0 offset:724 ; 4-byte Folded Reload
	buffer_load_dword v72, off, s[0:3], 0 offset:728 ; 4-byte Folded Reload
	buffer_load_dword v73, off, s[0:3], 0 offset:732 ; 4-byte Folded Reload
	s_waitcnt vmcnt(22)
	v_pk_mov_b32 v[30:31], v[50:51], v[50:51] op_sel:[0,1]
	buffer_load_dword v42, off, s[0:3], 0 offset:1376 ; 4-byte Folded Reload
	buffer_load_dword v43, off, s[0:3], 0 offset:1380 ; 4-byte Folded Reload
	;; [unrolled: 1-line block ×32, first 2 shown]
	s_waitcnt vmcnt(19)
	v_mov_b32_e32 v24, v54
	buffer_load_dword v42, off, s[0:3], 0 offset:1504 ; 4-byte Folded Reload
	buffer_load_dword v43, off, s[0:3], 0 offset:1508 ; 4-byte Folded Reload
	;; [unrolled: 1-line block ×32, first 2 shown]
	s_waitcnt vmcnt(21)
	v_mov_b32_e32 v34, v52
.LBB2_40:                               ; =>This Inner Loop Header: Depth=1
	v_lshl_add_u32 v2, v5, 2, v209
	buffer_load_dword v7, v2, s[0:3], 0 offen
	s_waitcnt vmcnt(0)
	v_cmp_gt_i32_e32 vcc, 0, v7
	v_cndmask_b32_e32 v13, v7, v10, vcc
	v_cmp_eq_u32_e64 s[6:7], 1, v13
	v_cndmask_b32_e64 v2, v105, v27, s[6:7]
	v_cmp_eq_u32_e64 s[8:9], 2, v13
	v_cndmask_b32_e64 v3, v104, v26, s[6:7]
	v_cndmask_b32_e64 v2, v2, v29, s[8:9]
	v_cmp_eq_u32_e64 s[10:11], 3, v13
	v_cndmask_b32_e64 v3, v3, v28, s[8:9]
	;; [unrolled: 3-line block ×6, first 2 shown]
	v_cndmask_b32_e64 v2, v2, v21, s[8:9]
	v_cndmask_b32_e64 v3, v3, v22, s[8:9]
	v_cmp_eq_u32_e64 s[6:7], 8, v13
	v_cndmask_b32_e64 v15, v2, v17, s[6:7]
	v_cndmask_b32_e64 v14, v3, v20, s[6:7]
	v_pk_mov_b32 v[2:3], v[8:9], v[8:9] op_sel:[0,1]
	v_cmp_le_f64_e64 s[6:7], 0, v[2:3]
	v_cmp_gt_f64_e64 s[8:9], 0, v[2:3]
	v_cmp_gt_f64_e64 s[10:11], 0, v[14:15]
	v_cmp_le_f64_e64 s[12:13], 0, v[14:15]
	s_and_b64 s[6:7], s[6:7], s[10:11]
	s_and_b64 s[8:9], s[8:9], s[12:13]
	v_cndmask_b32_e64 v6, v6, v13, s[6:7]
	v_cndmask_b32_e64 v12, v12, v13, s[8:9]
	;; [unrolled: 1-line block ×4, first 2 shown]
	s_or_b64 s[16:17], vcc, s[16:17]
	v_mov_b32_e32 v5, v7
	v_pk_mov_b32 v[8:9], v[14:15], v[14:15] op_sel:[0,1]
	s_andn2_b64 exec, exec, s[16:17]
	s_cbranch_execnz .LBB2_40
; %bb.41:
	s_or_b64 exec, exec, s[16:17]
.LBB2_42:
	s_or_b64 exec, exec, s[14:15]
	v_cmp_lt_i32_e64 s[6:7], -1, v11
	v_mov_b32_e32 v7, -1
	v_mov_b32_e32 v5, -1
	;; [unrolled: 1-line block ×3, first 2 shown]
	s_and_saveexec_b64 s[56:57], s[6:7]
	s_cbranch_execz .LBB2_44
; %bb.43:
	buffer_load_dword a26, off, s[0:3], 0 offset:352 ; 4-byte Folded Reload
	buffer_load_dword a27, off, s[0:3], 0 offset:356 ; 4-byte Folded Reload
	;; [unrolled: 1-line block ×64, first 2 shown]
	s_waitcnt vmcnt(18)
	v_accvgpr_read_b32 v55, a25
	v_accvgpr_read_b32 v53, a13
	buffer_load_dword a0, off, s[0:3], 0 offset:1632 ; 4-byte Folded Reload
	buffer_load_dword a1, off, s[0:3], 0 offset:1636 ; 4-byte Folded Reload
	;; [unrolled: 1-line block ×32, first 2 shown]
	v_cmp_eq_u32_e64 s[8:9], 1, v6
	v_cndmask_b32_e64 v5, v105, v27, s[8:9]
	v_cmp_eq_u32_e64 s[10:11], 2, v6
	v_cmp_eq_u32_e64 s[12:13], 3, v6
	;; [unrolled: 1-line block ×7, first 2 shown]
	v_cndmask_b32_e64 v6, v104, v26, s[8:9]
	v_cndmask_b32_e64 v5, v5, v29, s[10:11]
	;; [unrolled: 1-line block ×3, first 2 shown]
	v_accvgpr_read_b32 v42, a58
	v_cmp_eq_u32_e64 s[24:25], 1, v11
	v_cmp_eq_u32_e64 s[26:27], 2, v11
	;; [unrolled: 1-line block ×8, first 2 shown]
	v_pk_mov_b32 v[82:83], v[26:27], v[26:27] op_sel:[0,1]
	v_pk_mov_b32 v[80:81], v[28:29], v[28:29] op_sel:[0,1]
	v_accvgpr_read_b32 v78, a254
	v_accvgpr_read_b32 v79, a255
	;; [unrolled: 1-line block ×8, first 2 shown]
	s_waitcnt vmcnt(42)
	v_accvgpr_read_b32 v63, a153
	v_accvgpr_read_b32 v61, a141
	s_waitcnt vmcnt(32)
	v_accvgpr_read_b32 v73, a103
	v_accvgpr_read_b32 v71, a187
	;; [unrolled: 1-line block ×4, first 2 shown]
	v_cndmask_b32_e64 v5, v5, v39, s[12:13]
	v_cndmask_b32_e64 v6, v6, v38, s[12:13]
	s_waitcnt vmcnt(16)
	v_accvgpr_read_b32 v49, a15
	buffer_load_dword a0, off, s[0:3], 0 offset:1504 ; 4-byte Folded Reload
	buffer_load_dword a1, off, s[0:3], 0 offset:1508 ; 4-byte Folded Reload
	;; [unrolled: 1-line block ×32, first 2 shown]
	v_cndmask_b32_e64 v5, v5, v51, s[14:15]
	v_cndmask_b32_e64 v6, v6, v50, s[14:15]
	v_cndmask_b32_e64 v5, v5, v55, s[16:17]
	v_cndmask_b32_e64 v5, v5, v53, s[18:19]
	v_cndmask_b32_e64 v5, v5, v49, s[20:21]
	s_waitcnt vmcnt(21)
	v_accvgpr_read_b32 v54, a10
	buffer_load_dword a0, off, s[0:3], 0 offset:1376 ; 4-byte Folded Reload
	buffer_load_dword a1, off, s[0:3], 0 offset:1380 ; 4-byte Folded Reload
	buffer_load_dword a2, off, s[0:3], 0 offset:1384 ; 4-byte Folded Reload
	buffer_load_dword a3, off, s[0:3], 0 offset:1388 ; 4-byte Folded Reload
	buffer_load_dword a4, off, s[0:3], 0 offset:1392 ; 4-byte Folded Reload
	buffer_load_dword a5, off, s[0:3], 0 offset:1396 ; 4-byte Folded Reload
	buffer_load_dword a6, off, s[0:3], 0 offset:1400 ; 4-byte Folded Reload
	buffer_load_dword a7, off, s[0:3], 0 offset:1404 ; 4-byte Folded Reload
	buffer_load_dword a8, off, s[0:3], 0 offset:1408 ; 4-byte Folded Reload
	buffer_load_dword a9, off, s[0:3], 0 offset:1412 ; 4-byte Folded Reload
	buffer_load_dword a10, off, s[0:3], 0 offset:1416 ; 4-byte Folded Reload
	buffer_load_dword a11, off, s[0:3], 0 offset:1420 ; 4-byte Folded Reload
	buffer_load_dword a12, off, s[0:3], 0 offset:1424 ; 4-byte Folded Reload
	buffer_load_dword a13, off, s[0:3], 0 offset:1428 ; 4-byte Folded Reload
	buffer_load_dword a14, off, s[0:3], 0 offset:1432 ; 4-byte Folded Reload
	buffer_load_dword a15, off, s[0:3], 0 offset:1436 ; 4-byte Folded Reload
	buffer_load_dword a16, off, s[0:3], 0 offset:1440 ; 4-byte Folded Reload
	buffer_load_dword a17, off, s[0:3], 0 offset:1444 ; 4-byte Folded Reload
	buffer_load_dword a18, off, s[0:3], 0 offset:1448 ; 4-byte Folded Reload
	buffer_load_dword a19, off, s[0:3], 0 offset:1452 ; 4-byte Folded Reload
	buffer_load_dword a20, off, s[0:3], 0 offset:1456 ; 4-byte Folded Reload
	buffer_load_dword a21, off, s[0:3], 0 offset:1460 ; 4-byte Folded Reload
	buffer_load_dword a22, off, s[0:3], 0 offset:1464 ; 4-byte Folded Reload
	buffer_load_dword a23, off, s[0:3], 0 offset:1468 ; 4-byte Folded Reload
	buffer_load_dword a24, off, s[0:3], 0 offset:1472 ; 4-byte Folded Reload
	buffer_load_dword a25, off, s[0:3], 0 offset:1476 ; 4-byte Folded Reload
	buffer_load_dword a26, off, s[0:3], 0 offset:1480 ; 4-byte Folded Reload
	buffer_load_dword a27, off, s[0:3], 0 offset:1484 ; 4-byte Folded Reload
	buffer_load_dword a28, off, s[0:3], 0 offset:1488 ; 4-byte Folded Reload
	buffer_load_dword a29, off, s[0:3], 0 offset:1492 ; 4-byte Folded Reload
	buffer_load_dword a30, off, s[0:3], 0 offset:1496 ; 4-byte Folded Reload
	buffer_load_dword a31, off, s[0:3], 0 offset:1500 ; 4-byte Folded Reload
	v_cndmask_b32_e64 v6, v6, v54, s[16:17]
	s_waitcnt vmcnt(19)
	v_accvgpr_read_b32 v52, a12
	buffer_load_dword a0, off, s[0:3], 0 offset:1120 ; 4-byte Folded Reload
	buffer_load_dword a1, off, s[0:3], 0 offset:1124 ; 4-byte Folded Reload
	buffer_load_dword a2, off, s[0:3], 0 offset:1128 ; 4-byte Folded Reload
	buffer_load_dword a3, off, s[0:3], 0 offset:1132 ; 4-byte Folded Reload
	buffer_load_dword a4, off, s[0:3], 0 offset:1136 ; 4-byte Folded Reload
	buffer_load_dword a5, off, s[0:3], 0 offset:1140 ; 4-byte Folded Reload
	buffer_load_dword a6, off, s[0:3], 0 offset:1144 ; 4-byte Folded Reload
	buffer_load_dword a7, off, s[0:3], 0 offset:1148 ; 4-byte Folded Reload
	buffer_load_dword a8, off, s[0:3], 0 offset:1152 ; 4-byte Folded Reload
	buffer_load_dword a9, off, s[0:3], 0 offset:1156 ; 4-byte Folded Reload
	buffer_load_dword a10, off, s[0:3], 0 offset:1160 ; 4-byte Folded Reload
	buffer_load_dword a11, off, s[0:3], 0 offset:1164 ; 4-byte Folded Reload
	buffer_load_dword a12, off, s[0:3], 0 offset:1168 ; 4-byte Folded Reload
	buffer_load_dword a13, off, s[0:3], 0 offset:1172 ; 4-byte Folded Reload
	buffer_load_dword a14, off, s[0:3], 0 offset:1176 ; 4-byte Folded Reload
	buffer_load_dword a15, off, s[0:3], 0 offset:1180 ; 4-byte Folded Reload
	buffer_load_dword a16, off, s[0:3], 0 offset:1184 ; 4-byte Folded Reload
	buffer_load_dword a17, off, s[0:3], 0 offset:1188 ; 4-byte Folded Reload
	buffer_load_dword a18, off, s[0:3], 0 offset:1192 ; 4-byte Folded Reload
	buffer_load_dword a19, off, s[0:3], 0 offset:1196 ; 4-byte Folded Reload
	buffer_load_dword a20, off, s[0:3], 0 offset:1200 ; 4-byte Folded Reload
	buffer_load_dword a21, off, s[0:3], 0 offset:1204 ; 4-byte Folded Reload
	buffer_load_dword a22, off, s[0:3], 0 offset:1208 ; 4-byte Folded Reload
	buffer_load_dword a23, off, s[0:3], 0 offset:1212 ; 4-byte Folded Reload
	buffer_load_dword a24, off, s[0:3], 0 offset:1216 ; 4-byte Folded Reload
	buffer_load_dword a25, off, s[0:3], 0 offset:1220 ; 4-byte Folded Reload
	buffer_load_dword a26, off, s[0:3], 0 offset:1224 ; 4-byte Folded Reload
	buffer_load_dword a27, off, s[0:3], 0 offset:1228 ; 4-byte Folded Reload
	buffer_load_dword a28, off, s[0:3], 0 offset:1232 ; 4-byte Folded Reload
	buffer_load_dword a29, off, s[0:3], 0 offset:1236 ; 4-byte Folded Reload
	buffer_load_dword a30, off, s[0:3], 0 offset:1240 ; 4-byte Folded Reload
	buffer_load_dword a31, off, s[0:3], 0 offset:1244 ; 4-byte Folded Reload
	v_cndmask_b32_e64 v6, v6, v52, s[18:19]
	;; [unrolled: 35-line block ×3, first 2 shown]
	v_cndmask_b32_e64 v20, v6, v42, s[22:23]
	v_cndmask_b32_e64 v6, v104, v26, s[24:25]
	;; [unrolled: 1-line block ×11, first 2 shown]
	s_waitcnt vmcnt(14)
	v_accvgpr_read_b32 v43, a17
	buffer_load_dword a0, off, s[0:3], 0 offset:224 ; 4-byte Folded Reload
	buffer_load_dword a1, off, s[0:3], 0 offset:228 ; 4-byte Folded Reload
	;; [unrolled: 1-line block ×32, first 2 shown]
	v_cndmask_b32_e64 v21, v5, v43, s[22:23]
	v_cndmask_b32_e64 v5, v105, v27, s[24:25]
	;; [unrolled: 1-line block ×9, first 2 shown]
	v_add_f64 v[8:9], -v[20:21], 0
	v_add_f64 v[14:15], v[22:23], -v[20:21]
	v_div_scale_f64 v[18:19], s[42:43], v[14:15], v[14:15], v[8:9]
	v_rcp_f64_e32 v[24:25], v[18:19]
	v_cndmask_b32_e64 v5, v103, v79, s[24:25]
	v_cndmask_b32_e64 v5, v5, v77, s[26:27]
	v_fma_f64 v[26:27], -v[18:19], v[24:25], 1.0
	v_fmac_f64_e32 v[24:25], v[24:25], v[26:27]
	v_fma_f64 v[26:27], -v[18:19], v[24:25], 1.0
	v_fmac_f64_e32 v[24:25], v[24:25], v[26:27]
	v_div_scale_f64 v[26:27], vcc, v[8:9], v[14:15], v[8:9]
	v_mul_f64 v[28:29], v[26:27], v[24:25]
	v_fma_f64 v[18:19], -v[18:19], v[28:29], v[26:27]
	s_nop 1
	v_div_fmas_f64 v[18:19], v[18:19], v[24:25], v[28:29]
	v_div_fixup_f64 v[28:29], v[18:19], v[14:15], v[8:9]
	v_add_f64 v[30:31], -v[28:29], 1.0
	s_waitcnt vmcnt(24)
	v_accvgpr_read_b32 v25, a7
	v_accvgpr_read_b32 v24, a6
	buffer_load_dword a0, off, s[0:3], 0 offset:96 ; 4-byte Folded Reload
	buffer_load_dword a1, off, s[0:3], 0 offset:100 ; 4-byte Folded Reload
	;; [unrolled: 1-line block ×32, first 2 shown]
	v_cndmask_b32_e64 v5, v5, v25, s[28:29]
	v_cndmask_b32_e64 v6, v6, v24, s[28:29]
	s_waitcnt vmcnt(22)
	v_accvgpr_read_b32 v27, a9
	v_accvgpr_read_b32 v26, a8
	buffer_load_dword a0, off, s[0:3], 0 offset:2144 ; 4-byte Folded Reload
	buffer_load_dword a1, off, s[0:3], 0 offset:2148 ; 4-byte Folded Reload
	;; [unrolled: 1-line block ×32, first 2 shown]
	v_cndmask_b32_e64 v5, v5, v27, s[30:31]
	v_cndmask_b32_e64 v5, v5, v47, s[34:35]
	;; [unrolled: 1-line block ×14, first 2 shown]
	s_waitcnt vmcnt(21)
	v_accvgpr_read_b32 v46, a10
	buffer_load_dword a0, off, s[0:3], 0 offset:2016 ; 4-byte Folded Reload
	buffer_load_dword a1, off, s[0:3], 0 offset:2020 ; 4-byte Folded Reload
	;; [unrolled: 1-line block ×32, first 2 shown]
	v_cndmask_b32_e64 v6, v6, v46, s[34:35]
	s_waitcnt vmcnt(19)
	v_accvgpr_read_b32 v44, a12
	buffer_load_dword a0, off, s[0:3], 0 offset:1888 ; 4-byte Folded Reload
	buffer_load_dword a1, off, s[0:3], 0 offset:1892 ; 4-byte Folded Reload
	buffer_load_dword a2, off, s[0:3], 0 offset:1896 ; 4-byte Folded Reload
	buffer_load_dword a3, off, s[0:3], 0 offset:1900 ; 4-byte Folded Reload
	buffer_load_dword a4, off, s[0:3], 0 offset:1904 ; 4-byte Folded Reload
	buffer_load_dword a5, off, s[0:3], 0 offset:1908 ; 4-byte Folded Reload
	buffer_load_dword a6, off, s[0:3], 0 offset:1912 ; 4-byte Folded Reload
	buffer_load_dword a7, off, s[0:3], 0 offset:1916 ; 4-byte Folded Reload
	buffer_load_dword a8, off, s[0:3], 0 offset:1920 ; 4-byte Folded Reload
	buffer_load_dword a9, off, s[0:3], 0 offset:1924 ; 4-byte Folded Reload
	buffer_load_dword a10, off, s[0:3], 0 offset:1928 ; 4-byte Folded Reload
	buffer_load_dword a11, off, s[0:3], 0 offset:1932 ; 4-byte Folded Reload
	buffer_load_dword a12, off, s[0:3], 0 offset:1936 ; 4-byte Folded Reload
	buffer_load_dword a13, off, s[0:3], 0 offset:1940 ; 4-byte Folded Reload
	buffer_load_dword a14, off, s[0:3], 0 offset:1944 ; 4-byte Folded Reload
	buffer_load_dword a15, off, s[0:3], 0 offset:1948 ; 4-byte Folded Reload
	buffer_load_dword a16, off, s[0:3], 0 offset:1952 ; 4-byte Folded Reload
	buffer_load_dword a17, off, s[0:3], 0 offset:1956 ; 4-byte Folded Reload
	buffer_load_dword a18, off, s[0:3], 0 offset:1960 ; 4-byte Folded Reload
	buffer_load_dword a19, off, s[0:3], 0 offset:1964 ; 4-byte Folded Reload
	buffer_load_dword a20, off, s[0:3], 0 offset:1968 ; 4-byte Folded Reload
	buffer_load_dword a21, off, s[0:3], 0 offset:1972 ; 4-byte Folded Reload
	buffer_load_dword a22, off, s[0:3], 0 offset:1976 ; 4-byte Folded Reload
	buffer_load_dword a23, off, s[0:3], 0 offset:1980 ; 4-byte Folded Reload
	buffer_load_dword a24, off, s[0:3], 0 offset:1984 ; 4-byte Folded Reload
	buffer_load_dword a25, off, s[0:3], 0 offset:1988 ; 4-byte Folded Reload
	buffer_load_dword a26, off, s[0:3], 0 offset:1992 ; 4-byte Folded Reload
	buffer_load_dword a27, off, s[0:3], 0 offset:1996 ; 4-byte Folded Reload
	buffer_load_dword a28, off, s[0:3], 0 offset:2000 ; 4-byte Folded Reload
	buffer_load_dword a29, off, s[0:3], 0 offset:2004 ; 4-byte Folded Reload
	buffer_load_dword a30, off, s[0:3], 0 offset:2008 ; 4-byte Folded Reload
	buffer_load_dword a31, off, s[0:3], 0 offset:2012 ; 4-byte Folded Reload
	v_cndmask_b32_e64 v6, v6, v44, s[36:37]
	s_waitcnt vmcnt(17)
	v_accvgpr_read_b32 v36, a14
	buffer_load_dword a0, off, s[0:3], 0 offset:1760 ; 4-byte Folded Reload
	buffer_load_dword a1, off, s[0:3], 0 offset:1764 ; 4-byte Folded Reload
	buffer_load_dword a2, off, s[0:3], 0 offset:1768 ; 4-byte Folded Reload
	buffer_load_dword a3, off, s[0:3], 0 offset:1772 ; 4-byte Folded Reload
	buffer_load_dword a4, off, s[0:3], 0 offset:1776 ; 4-byte Folded Reload
	buffer_load_dword a5, off, s[0:3], 0 offset:1780 ; 4-byte Folded Reload
	buffer_load_dword a6, off, s[0:3], 0 offset:1784 ; 4-byte Folded Reload
	buffer_load_dword a7, off, s[0:3], 0 offset:1788 ; 4-byte Folded Reload
	buffer_load_dword a8, off, s[0:3], 0 offset:1792 ; 4-byte Folded Reload
	buffer_load_dword a9, off, s[0:3], 0 offset:1796 ; 4-byte Folded Reload
	buffer_load_dword a10, off, s[0:3], 0 offset:1800 ; 4-byte Folded Reload
	buffer_load_dword a11, off, s[0:3], 0 offset:1804 ; 4-byte Folded Reload
	buffer_load_dword a12, off, s[0:3], 0 offset:1808 ; 4-byte Folded Reload
	buffer_load_dword a13, off, s[0:3], 0 offset:1812 ; 4-byte Folded Reload
	buffer_load_dword a14, off, s[0:3], 0 offset:1816 ; 4-byte Folded Reload
	buffer_load_dword a15, off, s[0:3], 0 offset:1820 ; 4-byte Folded Reload
	buffer_load_dword a16, off, s[0:3], 0 offset:1824 ; 4-byte Folded Reload
	buffer_load_dword a17, off, s[0:3], 0 offset:1828 ; 4-byte Folded Reload
	buffer_load_dword a18, off, s[0:3], 0 offset:1832 ; 4-byte Folded Reload
	buffer_load_dword a19, off, s[0:3], 0 offset:1836 ; 4-byte Folded Reload
	buffer_load_dword a20, off, s[0:3], 0 offset:1840 ; 4-byte Folded Reload
	buffer_load_dword a21, off, s[0:3], 0 offset:1844 ; 4-byte Folded Reload
	buffer_load_dword a22, off, s[0:3], 0 offset:1848 ; 4-byte Folded Reload
	buffer_load_dword a23, off, s[0:3], 0 offset:1852 ; 4-byte Folded Reload
	buffer_load_dword a24, off, s[0:3], 0 offset:1856 ; 4-byte Folded Reload
	buffer_load_dword a25, off, s[0:3], 0 offset:1860 ; 4-byte Folded Reload
	buffer_load_dword a26, off, s[0:3], 0 offset:1864 ; 4-byte Folded Reload
	buffer_load_dword a27, off, s[0:3], 0 offset:1868 ; 4-byte Folded Reload
	buffer_load_dword a28, off, s[0:3], 0 offset:1872 ; 4-byte Folded Reload
	buffer_load_dword a29, off, s[0:3], 0 offset:1876 ; 4-byte Folded Reload
	buffer_load_dword a30, off, s[0:3], 0 offset:1880 ; 4-byte Folded Reload
	buffer_load_dword a31, off, s[0:3], 0 offset:1884 ; 4-byte Folded Reload
	buffer_load_dword v5, off, s[0:3], 0 offset:84
	v_cndmask_b32_e64 v6, v6, v36, s[38:39]
	s_waitcnt vmcnt(16)
	v_accvgpr_read_b32 v18, a16
	buffer_load_dword a0, off, s[0:3], 0 offset:992 ; 4-byte Folded Reload
	buffer_load_dword a1, off, s[0:3], 0 offset:996 ; 4-byte Folded Reload
	;; [unrolled: 1-line block ×32, first 2 shown]
	v_cndmask_b32_e64 v8, v6, v18, s[40:41]
	v_cndmask_b32_e64 v6, v102, v78, s[8:9]
	;; [unrolled: 1-line block ×9, first 2 shown]
	v_mul_f64 v[34:35], v[14:15], v[30:31]
	v_fmac_f64_e32 v[34:35], v[8:9], v[28:29]
	s_waitcnt vmcnt(32)
	v_cmp_eq_u32_e64 s[44:45], 8, v5
	v_cmp_eq_u32_e64 s[46:47], 7, v5
	v_cndmask_b32_e64 v6, v18, v34, s[44:45]
	v_cndmask_b32_e64 v9, v36, v34, s[46:47]
	;; [unrolled: 1-line block ×3, first 2 shown]
	v_mul_f64 v[36:37], v[20:21], v[30:31]
	v_cmp_eq_u32_e64 s[48:49], 6, v5
	v_cmp_eq_u32_e32 vcc, 4, v5
	v_fmac_f64_e32 v[36:37], v[22:23], v[28:29]
	v_cndmask_b32_e64 v13, v44, v34, s[48:49]
	v_cndmask_b32_e32 v44, v26, v34, vcc
	v_cndmask_b32_e64 v26, v49, v37, s[46:47]
	v_cndmask_b32_e32 v49, v51, v37, vcc
	v_cndmask_b32_e64 v8, v251, v253, s[24:25]
	v_cndmask_b32_e64 v8, v8, v255, s[26:27]
	;; [unrolled: 1-line block ×6, first 2 shown]
	v_cmp_eq_u32_e64 s[50:51], 5, v5
	v_cmp_eq_u32_e64 s[42:43], 3, v5
	v_cndmask_b32_e64 v15, v47, v35, s[50:51]
	v_cndmask_b32_e64 v47, v25, v35, s[42:43]
	;; [unrolled: 1-line block ×19, first 2 shown]
	v_cndmask_b32_e32 v48, v50, v36, vcc
	v_cndmask_b32_e64 v38, v38, v146, s[36:37]
	v_cndmask_b32_e64 v19, v17, v35, s[44:45]
	;; [unrolled: 1-line block ×3, first 2 shown]
	v_cndmask_b32_e32 v45, v27, v35, vcc
	v_cndmask_b32_e64 v27, v43, v37, s[44:45]
	v_cndmask_b32_e64 v14, v46, v34, s[50:51]
	;; [unrolled: 1-line block ×5, first 2 shown]
	s_waitcnt vmcnt(16)
	v_accvgpr_read_b32 v59, a15
	buffer_load_dword a0, off, s[0:3], 0 offset:864 ; 4-byte Folded Reload
	buffer_load_dword a1, off, s[0:3], 0 offset:868 ; 4-byte Folded Reload
	;; [unrolled: 1-line block ×32, first 2 shown]
	v_cndmask_b32_e64 v8, v8, v59, s[38:39]
	s_waitcnt vmcnt(17)
	v_accvgpr_read_b32 v56, a14
	buffer_load_dword a0, off, s[0:3], 0 offset:736 ; 4-byte Folded Reload
	buffer_load_dword a1, off, s[0:3], 0 offset:740 ; 4-byte Folded Reload
	;; [unrolled: 1-line block ×32, first 2 shown]
	v_cndmask_b32_e64 v42, v42, v56, s[20:21]
	v_cndmask_b32_e64 v38, v38, v56, s[38:39]
	s_waitcnt vmcnt(14)
	v_accvgpr_read_b32 v51, a17
	buffer_load_dword a0, off, s[0:3], 0 offset:480 ; 4-byte Folded Reload
	buffer_load_dword a1, off, s[0:3], 0 offset:484 ; 4-byte Folded Reload
	;; [unrolled: 1-line block ×32, first 2 shown]
	v_cndmask_b32_e64 v39, v8, v51, s[40:41]
	v_cndmask_b32_e64 v8, v251, v253, s[8:9]
	;; [unrolled: 1-line block ×15, first 2 shown]
	s_waitcnt vmcnt(15)
	v_accvgpr_read_b32 v50, a16
	v_cndmask_b32_e64 v42, v42, v50, s[22:23]
	v_cndmask_b32_e64 v38, v38, v50, s[40:41]
	v_mul_f64 v[42:43], v[42:43], v[30:31]
	v_fmac_f64_e32 v[42:43], v[38:39], v[28:29]
	v_cndmask_b32_e64 v38, v248, v32, s[8:9]
	v_cndmask_b32_e64 v38, v38, v204, s[10:11]
	;; [unrolled: 1-line block ×6, first 2 shown]
	v_accvgpr_read_b32 v51, a91
	v_cndmask_b32_e64 v38, v38, v184, s[18:19]
	v_cndmask_b32_e64 v65, v41, v43, s[42:43]
	;; [unrolled: 1-line block ×4, first 2 shown]
	v_accvgpr_read_b32 v41, a75
	v_cndmask_b32_e64 v39, v8, v41, s[22:23]
	v_cndmask_b32_e64 v38, v38, v16, s[22:23]
	v_mul_f64 v[30:31], v[38:39], v[30:31]
	v_cndmask_b32_e64 v8, v249, v33, s[24:25]
	v_cndmask_b32_e64 v38, v248, v32, s[24:25]
	;; [unrolled: 1-line block ×16, first 2 shown]
	v_fmac_f64_e32 v[30:31], v[38:39], v[28:29]
	v_mov_b32_e32 v28, 0
	v_lshl_add_u32 v8, v5, 2, v28
	buffer_load_dword v8, v8, s[0:3], 0 offen offset:40
	v_cndmask_b32_e64 v72, v73, v31, s[50:51]
	v_cndmask_b32_e64 v54, v50, v42, s[44:45]
	;; [unrolled: 1-line block ×8, first 2 shown]
	v_cmp_eq_u32_e64 s[8:9], 2, v5
	v_cmp_eq_u32_e64 s[44:45], 1, v5
	;; [unrolled: 1-line block ×3, first 2 shown]
	v_cndmask_b32_e64 v60, v61, v43, s[48:49]
	v_cndmask_b32_e64 v61, v63, v43, s[50:51]
	v_cndmask_b32_e32 v63, v75, v43, vcc
	v_cndmask_b32_e64 v50, v76, v34, s[8:9]
	v_cndmask_b32_e64 v51, v78, v34, s[44:45]
	;; [unrolled: 1-line block ×14, first 2 shown]
	v_cmp_eq_u32_e64 s[8:9], 1, v4
	v_cmp_eq_u32_e64 s[10:11], 2, v4
	;; [unrolled: 1-line block ×8, first 2 shown]
	v_cndmask_b32_e64 v4, v80, v79, s[8:9]
	v_cndmask_b32_e64 v4, v4, v78, s[10:11]
	;; [unrolled: 1-line block ×7, first 2 shown]
	v_cmp_eq_u32_e64 s[24:25], 1, v12
	v_cmp_eq_u32_e64 s[26:27], 2, v12
	;; [unrolled: 1-line block ×8, first 2 shown]
	v_cndmask_b32_e32 v62, v74, v42, vcc
	v_cndmask_b32_e64 v74, v102, v34, s[46:47]
	v_cndmask_b32_e64 v77, v103, v35, s[46:47]
	;; [unrolled: 1-line block ×14, first 2 shown]
	v_cndmask_b32_e32 v90, v132, v30, vcc
	v_cndmask_b32_e64 v93, v32, v30, s[44:45]
	v_cndmask_b32_e64 v94, v248, v30, s[46:47]
	v_cndmask_b32_e32 v95, v133, v31, vcc
	v_cndmask_b32_e64 v100, v249, v31, s[46:47]
	s_waitcnt vmcnt(0)
	v_lshl_add_u32 v28, v8, 2, v28
	buffer_load_dword v73, v28, s[0:3], 0 offen offset:40
	v_cndmask_b32_e64 v28, v83, v82, s[8:9]
	v_cndmask_b32_e64 v28, v28, v81, s[10:11]
	;; [unrolled: 1-line block ×25, first 2 shown]
	v_add_f64 v[34:35], -v[28:29], 0
	v_add_f64 v[38:39], v[36:37], -v[28:29]
	v_div_scale_f64 v[40:41], s[42:43], v[38:39], v[38:39], v[34:35]
	v_rcp_f64_e32 v[42:43], v[40:41]
	v_cndmask_b32_e64 v4, v33, v31, s[44:45]
	v_cmp_eq_u32_e64 s[42:43], 3, v8
	v_cmp_eq_u32_e64 s[44:45], 2, v8
	v_fma_f64 v[30:31], -v[40:41], v[42:43], 1.0
	v_fmac_f64_e32 v[42:43], v[42:43], v[30:31]
	v_fma_f64 v[30:31], -v[40:41], v[42:43], 1.0
	v_fmac_f64_e32 v[42:43], v[42:43], v[30:31]
	v_div_scale_f64 v[30:31], vcc, v[34:35], v[38:39], v[34:35]
	v_mul_f64 v[32:33], v[30:31], v[42:43]
	v_fma_f64 v[30:31], -v[40:41], v[32:33], v[30:31]
	v_cmp_eq_u32_e64 s[46:47], 1, v8
	s_nop 0
	v_div_fmas_f64 v[30:31], v[30:31], v[42:43], v[32:33]
	v_div_fixup_f64 v[30:31], v[30:31], v[38:39], v[34:35]
	v_cndmask_b32_e64 v34, v77, v76, s[8:9]
	v_cndmask_b32_e64 v32, v77, v76, s[24:25]
	;; [unrolled: 1-line block ×31, first 2 shown]
	v_add_f64 v[38:39], -v[30:31], 1.0
	v_cndmask_b32_e64 v32, v32, v6, s[40:41]
	v_mul_f64 v[34:35], v[34:35], v[38:39]
	v_fmac_f64_e32 v[34:35], v[32:33], v[30:31]
	v_cmp_eq_u32_e32 vcc, 4, v8
	v_cndmask_b32_e32 v33, v45, v35, vcc
	v_cndmask_b32_e32 v32, v44, v34, vcc
	s_waitcnt vmcnt(0)
	buffer_store_dword v73, off, s[0:3], 0 offset:84
	buffer_store_dword v24, off, s[0:3], 0 offset:96 ; 4-byte Folded Spill
	s_nop 0
	buffer_store_dword v25, off, s[0:3], 0 offset:100 ; 4-byte Folded Spill
	buffer_store_dword v26, off, s[0:3], 0 offset:104 ; 4-byte Folded Spill
	;; [unrolled: 1-line block ×31, first 2 shown]
	v_cmp_eq_u32_e64 s[48:49], 0, v8
	v_cndmask_b32_e64 v33, v47, v35, s[42:43]
	v_cndmask_b32_e64 v32, v46, v34, s[42:43]
	buffer_store_dword v26, off, s[0:3], 0 offset:224 ; 4-byte Folded Spill
	s_nop 0
	buffer_store_dword v27, off, s[0:3], 0 offset:228 ; 4-byte Folded Spill
	buffer_store_dword v28, off, s[0:3], 0 offset:232 ; 4-byte Folded Spill
	;; [unrolled: 1-line block ×31, first 2 shown]
	v_cndmask_b32_e64 v40, v100, v4, s[8:9]
	v_cndmask_b32_e64 v40, v40, v97, s[10:11]
	;; [unrolled: 1-line block ×18, first 2 shown]
	v_accvgpr_write_b32 a251, v33
	v_accvgpr_write_b32 a250, v32
	v_cndmask_b32_e64 v33, v76, v35, s[46:47]
	v_mul_f64 v[28:29], v[28:29], v[38:39]
	v_cndmask_b32_e64 v32, v51, v34, s[46:47]
	v_accvgpr_write_b32 a255, v33
	v_fmac_f64_e32 v[28:29], v[36:37], v[30:31]
	v_cndmask_b32_e64 v36, v89, v88, s[8:9]
	v_accvgpr_write_b32 a254, v32
	v_cndmask_b32_e64 v32, v89, v88, s[24:25]
	v_cndmask_b32_e64 v36, v36, v87, s[10:11]
	;; [unrolled: 1-line block ×31, first 2 shown]
	v_mul_f64 v[36:37], v[36:37], v[38:39]
	v_fmac_f64_e32 v[36:37], v[32:33], v[30:31]
	v_cndmask_b32_e64 v32, v100, v4, s[24:25]
	v_cndmask_b32_e64 v32, v32, v97, s[26:27]
	;; [unrolled: 1-line block ×16, first 2 shown]
	v_mul_f64 v[38:39], v[40:41], v[38:39]
	v_fmac_f64_e32 v[38:39], v[32:33], v[30:31]
	v_cndmask_b32_e32 v31, v49, v29, vcc
	v_cndmask_b32_e32 v30, v48, v28, vcc
	v_cndmask_b32_e64 v103, v77, v35, s[48:49]
	v_cndmask_b32_e64 v102, v74, v34, s[48:49]
	buffer_store_dword v22, off, s[0:3], 0 offset:608 ; 4-byte Folded Spill
	s_nop 0
	buffer_store_dword v23, off, s[0:3], 0 offset:612 ; 4-byte Folded Spill
	buffer_store_dword v24, off, s[0:3], 0 offset:616 ; 4-byte Folded Spill
	;; [unrolled: 1-line block ×31, first 2 shown]
	v_cmp_eq_u32_e64 s[12:13], 8, v8
	v_cmp_eq_u32_e64 s[8:9], 6, v8
	;; [unrolled: 1-line block ×3, first 2 shown]
	v_cndmask_b32_e64 v31, v53, v29, s[42:43]
	v_cndmask_b32_e64 v30, v52, v28, s[42:43]
	buffer_store_dword v24, off, s[0:3], 0 offset:352 ; 4-byte Folded Spill
	s_nop 0
	buffer_store_dword v25, off, s[0:3], 0 offset:356 ; 4-byte Folded Spill
	buffer_store_dword v26, off, s[0:3], 0 offset:360 ; 4-byte Folded Spill
	;; [unrolled: 1-line block ×31, first 2 shown]
	v_cndmask_b32_e64 v31, v81, v29, s[44:45]
	v_cndmask_b32_e64 v30, v78, v28, s[44:45]
	;; [unrolled: 1-line block ×11, first 2 shown]
	v_cndmask_b32_e32 v75, v63, v37, vcc
	v_cndmask_b32_e32 v74, v62, v36, vcc
	v_cndmask_b32_e64 v255, v87, v37, s[44:45]
	v_cndmask_b32_e64 v254, v84, v36, s[44:45]
	;; [unrolled: 1-line block ×6, first 2 shown]
	v_cndmask_b32_e32 v133, v95, v39, vcc
	v_cndmask_b32_e32 v132, v90, v38, vcc
	v_cndmask_b32_e64 v99, v96, v39, s[42:43]
	v_cndmask_b32_e64 v98, v91, v38, s[42:43]
	;; [unrolled: 1-line block ×7, first 2 shown]
	buffer_store_dword v28, off, s[0:3], 0 offset:1760 ; 4-byte Folded Spill
	s_nop 0
	buffer_store_dword v29, off, s[0:3], 0 offset:1764 ; 4-byte Folded Spill
	buffer_store_dword v30, off, s[0:3], 0 offset:1768 ; 4-byte Folded Spill
	;; [unrolled: 1-line block ×31, first 2 shown]
	v_cmp_eq_u32_e32 vcc, 7, v8
	v_accvgpr_write_b32 a205, v19
	v_cndmask_b32_e32 v19, v18, v35, vcc
	v_cndmask_b32_e32 v18, v9, v34, vcc
	v_accvgpr_write_b32 a169, v19
	buffer_store_dword v4, off, s[0:3], 0 offset:1888 ; 4-byte Folded Spill
	s_nop 0
	buffer_store_dword v5, off, s[0:3], 0 offset:1892 ; 4-byte Folded Spill
	buffer_store_dword v6, off, s[0:3], 0 offset:1896 ; 4-byte Folded Spill
	;; [unrolled: 1-line block ×31, first 2 shown]
	v_cndmask_b32_e32 v170, v66, v38, vcc
	v_cndmask_b32_e64 v184, v67, v38, s[8:9]
	v_cndmask_b32_e64 v226, v68, v38, s[10:11]
	;; [unrolled: 1-line block ×4, first 2 shown]
	v_accvgpr_write_b32 a117, v17
	buffer_store_dword v6, off, s[0:3], 0 offset:2016 ; 4-byte Folded Spill
	s_nop 0
	buffer_store_dword v7, off, s[0:3], 0 offset:2020 ; 4-byte Folded Spill
	buffer_store_dword v8, off, s[0:3], 0 offset:2024 ; 4-byte Folded Spill
	;; [unrolled: 1-line block ×31, first 2 shown]
	v_cndmask_b32_e64 v13, v15, v35, s[10:11]
	v_cndmask_b32_e64 v14, v14, v34, s[10:11]
	v_accvgpr_write_b32 a217, v13
	buffer_store_dword v4, off, s[0:3], 0 offset:2144 ; 4-byte Folded Spill
	s_nop 0
	buffer_store_dword v5, off, s[0:3], 0 offset:2148 ; 4-byte Folded Spill
	buffer_store_dword v6, off, s[0:3], 0 offset:2152 ; 4-byte Folded Spill
	;; [unrolled: 1-line block ×31, first 2 shown]
	v_cndmask_b32_e64 v146, v56, v36, s[8:9]
	v_cndmask_b32_e64 v110, v57, v36, s[10:11]
	;; [unrolled: 1-line block ×3, first 2 shown]
	buffer_store_dword v0, off, s[0:3], 0 offset:1248 ; 4-byte Folded Spill
	s_nop 0
	buffer_store_dword v1, off, s[0:3], 0 offset:1252 ; 4-byte Folded Spill
	buffer_store_dword v2, off, s[0:3], 0 offset:1256 ; 4-byte Folded Spill
	;; [unrolled: 1-line block ×31, first 2 shown]
	v_cndmask_b32_e64 v18, v23, v28, s[12:13]
	v_cndmask_b32_e32 v15, v26, v29, vcc
	v_accvgpr_write_b32 a58, v18
	buffer_store_dword v0, off, s[0:3], 0 offset:1632 ; 4-byte Folded Spill
	s_nop 0
	buffer_store_dword v1, off, s[0:3], 0 offset:1636 ; 4-byte Folded Spill
	buffer_store_dword v2, off, s[0:3], 0 offset:1640 ; 4-byte Folded Spill
	;; [unrolled: 1-line block ×31, first 2 shown]
	v_pk_mov_b32 v[26:27], v[42:43], v[42:43] op_sel:[0,1]
	v_cndmask_b32_e32 v14, v22, v28, vcc
	buffer_store_dword v0, off, s[0:3], 0 offset:1120 ; 4-byte Folded Spill
	s_nop 0
	buffer_store_dword v1, off, s[0:3], 0 offset:1124 ; 4-byte Folded Spill
	buffer_store_dword v2, off, s[0:3], 0 offset:1128 ; 4-byte Folded Spill
	;; [unrolled: 1-line block ×31, first 2 shown]
	v_cndmask_b32_e64 v13, v25, v29, s[8:9]
	v_cndmask_b32_e64 v14, v21, v28, s[8:9]
	v_accvgpr_write_b32 a13, v13
	buffer_store_dword v2, off, s[0:3], 0 offset:1376 ; 4-byte Folded Spill
	s_nop 0
	buffer_store_dword v3, off, s[0:3], 0 offset:1380 ; 4-byte Folded Spill
	buffer_store_dword v4, off, s[0:3], 0 offset:1384 ; 4-byte Folded Spill
	;; [unrolled: 1-line block ×31, first 2 shown]
	v_cndmask_b32_e64 v13, v24, v29, s[10:11]
	v_cndmask_b32_e64 v14, v20, v28, s[10:11]
	v_accvgpr_write_b32 a25, v13
	buffer_store_dword v4, off, s[0:3], 0 offset:1504 ; 4-byte Folded Spill
	s_nop 0
	buffer_store_dword v5, off, s[0:3], 0 offset:1508 ; 4-byte Folded Spill
	buffer_store_dword v6, off, s[0:3], 0 offset:1512 ; 4-byte Folded Spill
	;; [unrolled: 1-line block ×31, first 2 shown]
	v_cndmask_b32_e64 v17, v58, v37, s[12:13]
	v_pk_mov_b32 v[28:29], v[30:31], v[30:31] op_sel:[0,1]
	buffer_store_dword v0, off, s[0:3], 0 offset:736 ; 4-byte Folded Spill
	s_nop 0
	buffer_store_dword v1, off, s[0:3], 0 offset:740 ; 4-byte Folded Spill
	buffer_store_dword v2, off, s[0:3], 0 offset:744 ; 4-byte Folded Spill
	;; [unrolled: 1-line block ×31, first 2 shown]
	v_cndmask_b32_e64 v18, v54, v36, s[12:13]
	buffer_store_dword v2, off, s[0:3], 0 offset:480 ; 4-byte Folded Spill
	s_nop 0
	buffer_store_dword v3, off, s[0:3], 0 offset:484 ; 4-byte Folded Spill
	buffer_store_dword v4, off, s[0:3], 0 offset:488 ; 4-byte Folded Spill
	;; [unrolled: 1-line block ×31, first 2 shown]
	v_cndmask_b32_e32 v15, v59, v37, vcc
	buffer_store_dword v0, off, s[0:3], 0 offset:992 ; 4-byte Folded Spill
	s_nop 0
	buffer_store_dword v1, off, s[0:3], 0 offset:996 ; 4-byte Folded Spill
	buffer_store_dword v2, off, s[0:3], 0 offset:1000 ; 4-byte Folded Spill
	;; [unrolled: 1-line block ×31, first 2 shown]
	v_cndmask_b32_e32 v14, v55, v36, vcc
	buffer_store_dword v0, off, s[0:3], 0 offset:864 ; 4-byte Folded Spill
	s_nop 0
	buffer_store_dword v1, off, s[0:3], 0 offset:868 ; 4-byte Folded Spill
	buffer_store_dword v2, off, s[0:3], 0 offset:872 ; 4-byte Folded Spill
	buffer_store_dword v3, off, s[0:3], 0 offset:876 ; 4-byte Folded Spill
	buffer_store_dword v4, off, s[0:3], 0 offset:880 ; 4-byte Folded Spill
	buffer_store_dword v5, off, s[0:3], 0 offset:884 ; 4-byte Folded Spill
	buffer_store_dword v6, off, s[0:3], 0 offset:888 ; 4-byte Folded Spill
	buffer_store_dword v7, off, s[0:3], 0 offset:892 ; 4-byte Folded Spill
	buffer_store_dword v8, off, s[0:3], 0 offset:896 ; 4-byte Folded Spill
	buffer_store_dword v9, off, s[0:3], 0 offset:900 ; 4-byte Folded Spill
	buffer_store_dword v10, off, s[0:3], 0 offset:904 ; 4-byte Folded Spill
	buffer_store_dword v11, off, s[0:3], 0 offset:908 ; 4-byte Folded Spill
	buffer_store_dword v12, off, s[0:3], 0 offset:912 ; 4-byte Folded Spill
	buffer_store_dword v13, off, s[0:3], 0 offset:916 ; 4-byte Folded Spill
	buffer_store_dword v14, off, s[0:3], 0 offset:920 ; 4-byte Folded Spill
	buffer_store_dword v15, off, s[0:3], 0 offset:924 ; 4-byte Folded Spill
	buffer_store_dword v16, off, s[0:3], 0 offset:928 ; 4-byte Folded Spill
	buffer_store_dword v17, off, s[0:3], 0 offset:932 ; 4-byte Folded Spill
	buffer_store_dword v18, off, s[0:3], 0 offset:936 ; 4-byte Folded Spill
	buffer_store_dword v19, off, s[0:3], 0 offset:940 ; 4-byte Folded Spill
	buffer_store_dword v20, off, s[0:3], 0 offset:944 ; 4-byte Folded Spill
	buffer_store_dword v21, off, s[0:3], 0 offset:948 ; 4-byte Folded Spill
	buffer_store_dword v22, off, s[0:3], 0 offset:952 ; 4-byte Folded Spill
	buffer_store_dword v23, off, s[0:3], 0 offset:956 ; 4-byte Folded Spill
	buffer_store_dword v24, off, s[0:3], 0 offset:960 ; 4-byte Folded Spill
	buffer_store_dword v25, off, s[0:3], 0 offset:964 ; 4-byte Folded Spill
	buffer_store_dword v26, off, s[0:3], 0 offset:968 ; 4-byte Folded Spill
	buffer_store_dword v27, off, s[0:3], 0 offset:972 ; 4-byte Folded Spill
	buffer_store_dword v28, off, s[0:3], 0 offset:976 ; 4-byte Folded Spill
	buffer_store_dword v29, off, s[0:3], 0 offset:980 ; 4-byte Folded Spill
	buffer_store_dword v30, off, s[0:3], 0 offset:984 ; 4-byte Folded Spill
	buffer_store_dword v31, off, s[0:3], 0 offset:988 ; 4-byte Folded Spill
	v_cndmask_b32_e64 v13, v60, v37, s[8:9]
	v_accvgpr_write_b32 a141, v13
	v_cndmask_b32_e64 v13, v61, v37, s[10:11]
	v_accvgpr_write_b32 a153, v13
	v_cndmask_b32_e64 v13, v71, v39, s[8:9]
	v_cndmask_b32_e64 v17, v69, v39, s[12:13]
	v_cndmask_b32_e32 v15, v70, v39, vcc
	v_accvgpr_write_b32 a187, v13
	v_cndmask_b32_e64 v13, v72, v39, s[10:11]
	v_accvgpr_write_b32 a75, v17
	v_accvgpr_write_b32 a91, v15
	;; [unrolled: 1-line block ×3, first 2 shown]
	v_cndmask_b32_e64 v16, v16, v38, s[12:13]
.LBB2_44:
	s_or_b64 exec, exec, s[56:57]
	buffer_store_dword v7, off, s[0:3], 0 offset:80
	s_and_saveexec_b64 s[20:21], s[4:5]
	s_cbranch_execz .LBB2_53
; %bb.45:
	s_mov_b64 s[22:23], 0
	s_branch .LBB2_47
.LBB2_46:                               ;   in Loop: Header=BB2_47 Depth=1
	s_or_b64 exec, exec, s[10:11]
	s_waitcnt vmcnt(0)
	v_cmp_gt_i32_e32 vcc, 0, v4
	s_or_b64 s[22:23], vcc, s[22:23]
	v_mov_b32_e32 v10, v4
	s_andn2_b64 exec, exec, s[22:23]
	s_cbranch_execz .LBB2_53
.LBB2_47:                               ; =>This Inner Loop Header: Depth=1
	buffer_load_dword a26, off, s[0:3], 0 offset:352 ; 4-byte Folded Reload
	buffer_load_dword a27, off, s[0:3], 0 offset:356 ; 4-byte Folded Reload
	;; [unrolled: 1-line block ×64, first 2 shown]
	v_cmp_eq_u32_e32 vcc, 1, v10
	v_cndmask_b32_e32 v4, v105, v27, vcc
	v_cmp_eq_u32_e64 s[8:9], 2, v10
	v_cndmask_b32_e64 v4, v4, v29, s[8:9]
	v_cmp_eq_u32_e64 s[10:11], 3, v10
	v_cmp_eq_u32_e64 s[12:13], 4, v10
	;; [unrolled: 1-line block ×3, first 2 shown]
	v_accvgpr_read_b32 v13, a25
	v_cmp_eq_u32_e64 s[16:17], 6, v10
	v_cmp_eq_u32_e64 s[18:19], 7, v10
	v_cndmask_b32_e32 v6, v104, v26, vcc
	v_cndmask_b32_e64 v6, v6, v28, s[8:9]
	v_cmp_eq_u32_e32 vcc, 8, v10
	s_mov_b64 s[8:9], 0
	s_waitcnt vmcnt(56)
	v_accvgpr_read_b32 v14, a32
	s_waitcnt vmcnt(22)
	v_pk_mov_b32 v[18:19], v[50:51], v[50:51] op_sel:[0,1]
	buffer_load_dword v42, off, s[0:3], 0 offset:1632 ; 4-byte Folded Reload
	buffer_load_dword v43, off, s[0:3], 0 offset:1636 ; 4-byte Folded Reload
	;; [unrolled: 1-line block ×32, first 2 shown]
	v_accvgpr_read_b32 v15, a33
	v_cndmask_b32_e64 v4, v4, v15, s[10:11]
	v_cndmask_b32_e64 v4, v4, v19, s[12:13]
	;; [unrolled: 1-line block ×3, first 2 shown]
	v_accvgpr_read_b32 v13, a13
	v_cndmask_b32_e64 v4, v4, v13, s[16:17]
	v_cndmask_b32_e64 v6, v6, v14, s[10:11]
	;; [unrolled: 1-line block ×3, first 2 shown]
	v_accvgpr_read_b32 v18, a58
	s_waitcnt vmcnt(16)
	v_cndmask_b32_e64 v4, v4, v57, s[18:19]
	buffer_load_dword v42, off, s[0:3], 0 offset:1504 ; 4-byte Folded Reload
	buffer_load_dword v43, off, s[0:3], 0 offset:1508 ; 4-byte Folded Reload
	buffer_load_dword v44, off, s[0:3], 0 offset:1512 ; 4-byte Folded Reload
	buffer_load_dword v45, off, s[0:3], 0 offset:1516 ; 4-byte Folded Reload
	buffer_load_dword v46, off, s[0:3], 0 offset:1520 ; 4-byte Folded Reload
	buffer_load_dword v47, off, s[0:3], 0 offset:1524 ; 4-byte Folded Reload
	buffer_load_dword v48, off, s[0:3], 0 offset:1528 ; 4-byte Folded Reload
	buffer_load_dword v49, off, s[0:3], 0 offset:1532 ; 4-byte Folded Reload
	buffer_load_dword v50, off, s[0:3], 0 offset:1536 ; 4-byte Folded Reload
	buffer_load_dword v51, off, s[0:3], 0 offset:1540 ; 4-byte Folded Reload
	buffer_load_dword v52, off, s[0:3], 0 offset:1544 ; 4-byte Folded Reload
	buffer_load_dword v53, off, s[0:3], 0 offset:1548 ; 4-byte Folded Reload
	buffer_load_dword v54, off, s[0:3], 0 offset:1552 ; 4-byte Folded Reload
	buffer_load_dword v55, off, s[0:3], 0 offset:1556 ; 4-byte Folded Reload
	buffer_load_dword v56, off, s[0:3], 0 offset:1560 ; 4-byte Folded Reload
	buffer_load_dword v57, off, s[0:3], 0 offset:1564 ; 4-byte Folded Reload
	buffer_load_dword v58, off, s[0:3], 0 offset:1568 ; 4-byte Folded Reload
	buffer_load_dword v59, off, s[0:3], 0 offset:1572 ; 4-byte Folded Reload
	buffer_load_dword v60, off, s[0:3], 0 offset:1576 ; 4-byte Folded Reload
	buffer_load_dword v61, off, s[0:3], 0 offset:1580 ; 4-byte Folded Reload
	buffer_load_dword v62, off, s[0:3], 0 offset:1584 ; 4-byte Folded Reload
	buffer_load_dword v63, off, s[0:3], 0 offset:1588 ; 4-byte Folded Reload
	buffer_load_dword v64, off, s[0:3], 0 offset:1592 ; 4-byte Folded Reload
	buffer_load_dword v65, off, s[0:3], 0 offset:1596 ; 4-byte Folded Reload
	buffer_load_dword v66, off, s[0:3], 0 offset:1600 ; 4-byte Folded Reload
	buffer_load_dword v67, off, s[0:3], 0 offset:1604 ; 4-byte Folded Reload
	buffer_load_dword v68, off, s[0:3], 0 offset:1608 ; 4-byte Folded Reload
	buffer_load_dword v69, off, s[0:3], 0 offset:1612 ; 4-byte Folded Reload
	buffer_load_dword v70, off, s[0:3], 0 offset:1616 ; 4-byte Folded Reload
	buffer_load_dword v71, off, s[0:3], 0 offset:1620 ; 4-byte Folded Reload
	buffer_load_dword v72, off, s[0:3], 0 offset:1624 ; 4-byte Folded Reload
	buffer_load_dword v73, off, s[0:3], 0 offset:1628 ; 4-byte Folded Reload
	s_waitcnt vmcnt(21)
	v_cndmask_b32_e64 v6, v6, v52, s[14:15]
	buffer_load_dword v42, off, s[0:3], 0 offset:1376 ; 4-byte Folded Reload
	buffer_load_dword v43, off, s[0:3], 0 offset:1380 ; 4-byte Folded Reload
	buffer_load_dword v44, off, s[0:3], 0 offset:1384 ; 4-byte Folded Reload
	buffer_load_dword v45, off, s[0:3], 0 offset:1388 ; 4-byte Folded Reload
	buffer_load_dword v46, off, s[0:3], 0 offset:1392 ; 4-byte Folded Reload
	buffer_load_dword v47, off, s[0:3], 0 offset:1396 ; 4-byte Folded Reload
	buffer_load_dword v48, off, s[0:3], 0 offset:1400 ; 4-byte Folded Reload
	buffer_load_dword v49, off, s[0:3], 0 offset:1404 ; 4-byte Folded Reload
	buffer_load_dword v50, off, s[0:3], 0 offset:1408 ; 4-byte Folded Reload
	buffer_load_dword v51, off, s[0:3], 0 offset:1412 ; 4-byte Folded Reload
	buffer_load_dword v52, off, s[0:3], 0 offset:1416 ; 4-byte Folded Reload
	buffer_load_dword v53, off, s[0:3], 0 offset:1420 ; 4-byte Folded Reload
	buffer_load_dword v54, off, s[0:3], 0 offset:1424 ; 4-byte Folded Reload
	buffer_load_dword v55, off, s[0:3], 0 offset:1428 ; 4-byte Folded Reload
	buffer_load_dword v56, off, s[0:3], 0 offset:1432 ; 4-byte Folded Reload
	buffer_load_dword v57, off, s[0:3], 0 offset:1436 ; 4-byte Folded Reload
	buffer_load_dword v58, off, s[0:3], 0 offset:1440 ; 4-byte Folded Reload
	buffer_load_dword v59, off, s[0:3], 0 offset:1444 ; 4-byte Folded Reload
	buffer_load_dword v60, off, s[0:3], 0 offset:1448 ; 4-byte Folded Reload
	buffer_load_dword v61, off, s[0:3], 0 offset:1452 ; 4-byte Folded Reload
	buffer_load_dword v62, off, s[0:3], 0 offset:1456 ; 4-byte Folded Reload
	buffer_load_dword v63, off, s[0:3], 0 offset:1460 ; 4-byte Folded Reload
	buffer_load_dword v64, off, s[0:3], 0 offset:1464 ; 4-byte Folded Reload
	buffer_load_dword v65, off, s[0:3], 0 offset:1468 ; 4-byte Folded Reload
	buffer_load_dword v66, off, s[0:3], 0 offset:1472 ; 4-byte Folded Reload
	buffer_load_dword v67, off, s[0:3], 0 offset:1476 ; 4-byte Folded Reload
	buffer_load_dword v68, off, s[0:3], 0 offset:1480 ; 4-byte Folded Reload
	buffer_load_dword v69, off, s[0:3], 0 offset:1484 ; 4-byte Folded Reload
	buffer_load_dword v70, off, s[0:3], 0 offset:1488 ; 4-byte Folded Reload
	buffer_load_dword v71, off, s[0:3], 0 offset:1492 ; 4-byte Folded Reload
	buffer_load_dword v72, off, s[0:3], 0 offset:1496 ; 4-byte Folded Reload
	buffer_load_dword v73, off, s[0:3], 0 offset:1500 ; 4-byte Folded Reload
	;; [unrolled: 34-line block ×4, first 2 shown]
	v_cndmask_b32_e32 v6, v6, v18, vcc
	s_waitcnt vmcnt(14)
	v_cndmask_b32_e32 v7, v4, v59, vcc
	v_cmp_ngt_f64_e32 vcc, 0, v[6:7]
	v_lshl_add_u32 v7, v10, 2, v209
	buffer_load_dword v4, v7, s[0:3], 0 offen
                                        ; implicit-def: $vgpr6
	s_and_saveexec_b64 s[10:11], vcc
	s_xor_b64 s[10:11], exec, s[10:11]
	s_cbranch_execnz .LBB2_50
; %bb.48:                               ;   in Loop: Header=BB2_47 Depth=1
	s_andn2_saveexec_b64 s[10:11], s[10:11]
	s_cbranch_execnz .LBB2_51
.LBB2_49:                               ;   in Loop: Header=BB2_47 Depth=1
	s_or_b64 exec, exec, s[10:11]
	s_and_saveexec_b64 s[10:11], s[8:9]
	s_cbranch_execz .LBB2_46
	s_branch .LBB2_52
.LBB2_50:                               ;   in Loop: Header=BB2_47 Depth=1
	buffer_load_dword v6, off, s[0:3], 0 offset:80
                                        ; implicit-def: $vgpr7
	s_waitcnt vmcnt(0)
	v_cmp_eq_u32_e32 vcc, -1, v6
	v_mov_b32_e32 v6, 0x50
	s_and_b64 s[8:9], vcc, exec
	s_andn2_saveexec_b64 s[10:11], s[10:11]
	s_cbranch_execz .LBB2_49
.LBB2_51:                               ;   in Loop: Header=BB2_47 Depth=1
	buffer_load_dword v9, off, s[0:3], 0 offset:84
	v_mov_b32_e32 v6, 0x54
	s_or_b64 s[8:9], s[8:9], exec
	s_waitcnt vmcnt(0)
	buffer_store_dword v9, v7, s[0:3], 0 offen
	s_or_b64 exec, exec, s[10:11]
	s_and_saveexec_b64 s[10:11], s[8:9]
	s_cbranch_execz .LBB2_46
.LBB2_52:                               ;   in Loop: Header=BB2_47 Depth=1
	buffer_store_dword v10, v6, s[0:3], 0 offen
	s_branch .LBB2_46
.LBB2_53:
	s_or_b64 exec, exec, s[20:21]
	s_and_saveexec_b64 s[8:9], s[6:7]
	s_cbranch_execz .LBB2_55
; %bb.54:
	v_cmp_gt_f64_e32 vcc, 0, v[0:1]
	v_mov_b32_e32 v0, 0
	v_cmp_gt_f64_e64 s[6:7], 0, v[2:3]
	s_and_b64 s[4:5], s[4:5], vcc
	v_lshl_add_u32 v1, v8, 2, v0
	s_or_b64 s[4:5], s[6:7], s[4:5]
	v_lshl_add_u32 v3, v5, 2, v0
	v_lshl_add_u32 v0, v11, 2, v0
	v_cndmask_b32_e64 v2, v12, -1, s[4:5]
	buffer_store_dword v5, v0, s[0:3], 0 offen offset:40
	buffer_store_dword v8, v3, s[0:3], 0 offen offset:40
	;; [unrolled: 1-line block ×3, first 2 shown]
.LBB2_55:
	s_or_b64 exec, exec, s[8:9]
	buffer_load_dword v10, off, s[0:3], 0 offset:80
	buffer_load_dword v42, off, s[0:3], 0 offset:992 ; 4-byte Folded Reload
	buffer_load_dword v43, off, s[0:3], 0 offset:996 ; 4-byte Folded Reload
	;; [unrolled: 1-line block ×32, first 2 shown]
	v_accvgpr_read_b32 v11, a153
	v_accvgpr_read_b32 v13, a141
	v_pk_mov_b32 v[4:5], -1, -1
	v_mov_b32_e32 v12, -1
	v_pk_mov_b32 v[6:7], v[4:5], v[4:5] op_sel:[0,1]
	s_waitcnt vmcnt(32)
	v_cmp_eq_u32_e32 vcc, 1, v10
	v_cndmask_b32_e32 v0, v251, v253, vcc
	v_cmp_eq_u32_e64 s[4:5], 2, v10
	v_cndmask_b32_e64 v0, v0, v255, s[4:5]
	v_cmp_eq_u32_e64 s[6:7], 3, v10
	v_cndmask_b32_e32 v1, v250, v252, vcc
	v_cndmask_b32_e64 v0, v0, v41, s[6:7]
	v_cndmask_b32_e64 v1, v1, v254, s[4:5]
	v_cmp_eq_u32_e32 vcc, 4, v10
	v_cndmask_b32_e32 v0, v0, v75, vcc
	v_cndmask_b32_e64 v1, v1, v40, s[6:7]
	v_cmp_eq_u32_e64 s[4:5], 5, v10
	v_cndmask_b32_e64 v0, v0, v11, s[4:5]
	v_cndmask_b32_e32 v1, v1, v74, vcc
	v_cmp_eq_u32_e32 vcc, 6, v10
	v_cndmask_b32_e32 v0, v0, v13, vcc
	v_cndmask_b32_e64 v1, v1, v110, s[4:5]
	v_cmp_eq_u32_e64 s[4:5], 7, v10
	s_waitcnt vmcnt(16)
	v_cndmask_b32_e64 v0, v0, v57, s[4:5]
	buffer_load_dword v42, off, s[0:3], 0 offset:864 ; 4-byte Folded Reload
	buffer_load_dword v43, off, s[0:3], 0 offset:868 ; 4-byte Folded Reload
	;; [unrolled: 1-line block ×32, first 2 shown]
	v_cndmask_b32_e32 v1, v1, v146, vcc
	v_cmp_eq_u32_e32 vcc, 8, v10
	v_mov_b32_e32 v11, -1
	s_waitcnt vmcnt(17)
	v_cndmask_b32_e64 v2, v1, v56, s[4:5]
	buffer_load_dword v42, off, s[0:3], 0 offset:736 ; 4-byte Folded Reload
	buffer_load_dword v43, off, s[0:3], 0 offset:740 ; 4-byte Folded Reload
	;; [unrolled: 1-line block ×32, first 2 shown]
	v_cmp_lt_i32_e64 s[4:5], -1, v10
	s_waitcnt vmcnt(14)
	v_cndmask_b32_e32 v1, v0, v59, vcc
	buffer_load_dword v42, off, s[0:3], 0 offset:480 ; 4-byte Folded Reload
	buffer_load_dword v43, off, s[0:3], 0 offset:484 ; 4-byte Folded Reload
	buffer_load_dword v44, off, s[0:3], 0 offset:488 ; 4-byte Folded Reload
	buffer_load_dword v45, off, s[0:3], 0 offset:492 ; 4-byte Folded Reload
	buffer_load_dword v46, off, s[0:3], 0 offset:496 ; 4-byte Folded Reload
	buffer_load_dword v47, off, s[0:3], 0 offset:500 ; 4-byte Folded Reload
	buffer_load_dword v48, off, s[0:3], 0 offset:504 ; 4-byte Folded Reload
	buffer_load_dword v49, off, s[0:3], 0 offset:508 ; 4-byte Folded Reload
	buffer_load_dword v50, off, s[0:3], 0 offset:512 ; 4-byte Folded Reload
	buffer_load_dword v51, off, s[0:3], 0 offset:516 ; 4-byte Folded Reload
	buffer_load_dword v52, off, s[0:3], 0 offset:520 ; 4-byte Folded Reload
	buffer_load_dword v53, off, s[0:3], 0 offset:524 ; 4-byte Folded Reload
	buffer_load_dword v54, off, s[0:3], 0 offset:528 ; 4-byte Folded Reload
	buffer_load_dword v55, off, s[0:3], 0 offset:532 ; 4-byte Folded Reload
	buffer_load_dword v56, off, s[0:3], 0 offset:536 ; 4-byte Folded Reload
	buffer_load_dword v57, off, s[0:3], 0 offset:540 ; 4-byte Folded Reload
	buffer_load_dword v58, off, s[0:3], 0 offset:544 ; 4-byte Folded Reload
	buffer_load_dword v59, off, s[0:3], 0 offset:548 ; 4-byte Folded Reload
	buffer_load_dword v60, off, s[0:3], 0 offset:552 ; 4-byte Folded Reload
	buffer_load_dword v61, off, s[0:3], 0 offset:556 ; 4-byte Folded Reload
	buffer_load_dword v62, off, s[0:3], 0 offset:560 ; 4-byte Folded Reload
	buffer_load_dword v63, off, s[0:3], 0 offset:564 ; 4-byte Folded Reload
	buffer_load_dword v64, off, s[0:3], 0 offset:568 ; 4-byte Folded Reload
	buffer_load_dword v65, off, s[0:3], 0 offset:572 ; 4-byte Folded Reload
	buffer_load_dword v66, off, s[0:3], 0 offset:576 ; 4-byte Folded Reload
	buffer_load_dword v67, off, s[0:3], 0 offset:580 ; 4-byte Folded Reload
	buffer_load_dword v68, off, s[0:3], 0 offset:584 ; 4-byte Folded Reload
	buffer_load_dword v69, off, s[0:3], 0 offset:588 ; 4-byte Folded Reload
	buffer_load_dword v70, off, s[0:3], 0 offset:592 ; 4-byte Folded Reload
	buffer_load_dword v71, off, s[0:3], 0 offset:596 ; 4-byte Folded Reload
	buffer_load_dword v72, off, s[0:3], 0 offset:600 ; 4-byte Folded Reload
	buffer_load_dword v73, off, s[0:3], 0 offset:604 ; 4-byte Folded Reload
	s_waitcnt vmcnt(15)
	v_cndmask_b32_e32 v0, v2, v58, vcc
	v_pk_mov_b32 v[2:3], 0, 0
	s_and_saveexec_b64 s[14:15], s[4:5]
	s_cbranch_execz .LBB2_59
; %bb.56:
	buffer_load_dword v42, off, s[0:3], 0 offset:736 ; 4-byte Folded Reload
	buffer_load_dword v43, off, s[0:3], 0 offset:740 ; 4-byte Folded Reload
	;; [unrolled: 1-line block ×32, first 2 shown]
	s_mov_b64 s[16:17], 0
	v_mov_b32_e32 v11, -1
	v_mov_b32_e32 v5, v10
	v_mov_b32_e32 v4, -1
	v_mov_b32_e32 v6, -1
	;; [unrolled: 1-line block ×3, first 2 shown]
	v_pk_mov_b32 v[8:9], v[0:1], v[0:1] op_sel:[0,1]
	v_accvgpr_read_b32 v21, a141
	v_accvgpr_read_b32 v23, a153
	s_waitcnt vmcnt(14)
	v_mov_b32_e32 v17, v59
	buffer_load_dword v42, off, s[0:3], 0 offset:992 ; 4-byte Folded Reload
	buffer_load_dword v43, off, s[0:3], 0 offset:996 ; 4-byte Folded Reload
	;; [unrolled: 1-line block ×64, first 2 shown]
	s_waitcnt vmcnt(48)
	v_mov_b32_e32 v19, v57
	buffer_load_dword v42, off, s[0:3], 0 offset:864 ; 4-byte Folded Reload
	buffer_load_dword v43, off, s[0:3], 0 offset:868 ; 4-byte Folded Reload
	;; [unrolled: 1-line block ×32, first 2 shown]
	s_waitcnt vmcnt(47)
	v_accvgpr_read_b32 v18, a42
	s_waitcnt vmcnt(17)
	v_mov_b32_e32 v20, v56
.LBB2_57:                               ; =>This Inner Loop Header: Depth=1
	v_lshl_add_u32 v2, v5, 2, v209
	buffer_load_dword v7, v2, s[0:3], 0 offen
	s_waitcnt vmcnt(0)
	v_cmp_gt_i32_e32 vcc, 0, v7
	v_cndmask_b32_e32 v13, v7, v10, vcc
	v_cmp_eq_u32_e64 s[6:7], 1, v13
	v_cndmask_b32_e64 v2, v251, v253, s[6:7]
	v_cmp_eq_u32_e64 s[8:9], 2, v13
	v_cndmask_b32_e64 v3, v250, v252, s[6:7]
	v_cndmask_b32_e64 v2, v2, v255, s[8:9]
	v_cmp_eq_u32_e64 s[10:11], 3, v13
	v_cndmask_b32_e64 v3, v3, v254, s[8:9]
	;; [unrolled: 3-line block ×6, first 2 shown]
	v_cndmask_b32_e64 v2, v2, v19, s[8:9]
	v_cndmask_b32_e64 v3, v3, v20, s[8:9]
	v_cmp_eq_u32_e64 s[6:7], 8, v13
	v_cndmask_b32_e64 v15, v2, v17, s[6:7]
	v_cndmask_b32_e64 v14, v3, v18, s[6:7]
	v_pk_mov_b32 v[2:3], v[8:9], v[8:9] op_sel:[0,1]
	v_cmp_le_f64_e64 s[6:7], 0, v[2:3]
	v_cmp_gt_f64_e64 s[8:9], 0, v[2:3]
	v_cmp_gt_f64_e64 s[10:11], 0, v[14:15]
	v_cmp_le_f64_e64 s[12:13], 0, v[14:15]
	s_and_b64 s[6:7], s[6:7], s[10:11]
	s_and_b64 s[8:9], s[8:9], s[12:13]
	v_cndmask_b32_e64 v6, v6, v13, s[6:7]
	v_cndmask_b32_e64 v12, v12, v13, s[8:9]
	v_cndmask_b32_e64 v11, v11, v5, s[6:7]
	v_cndmask_b32_e64 v4, v4, v5, s[8:9]
	s_or_b64 s[16:17], vcc, s[16:17]
	v_mov_b32_e32 v5, v7
	v_pk_mov_b32 v[8:9], v[14:15], v[14:15] op_sel:[0,1]
	s_andn2_b64 exec, exec, s[16:17]
	s_cbranch_execnz .LBB2_57
; %bb.58:
	s_or_b64 exec, exec, s[16:17]
.LBB2_59:
	s_or_b64 exec, exec, s[14:15]
	v_cmp_lt_i32_e64 s[6:7], -1, v11
	v_mov_b32_e32 v7, -1
	v_mov_b32_e32 v5, -1
	;; [unrolled: 1-line block ×3, first 2 shown]
	s_and_saveexec_b64 s[56:57], s[6:7]
	s_cbranch_execz .LBB2_61
; %bb.60:
	buffer_load_dword a26, off, s[0:3], 0 offset:992 ; 4-byte Folded Reload
	buffer_load_dword a27, off, s[0:3], 0 offset:996 ; 4-byte Folded Reload
	;; [unrolled: 1-line block ×32, first 2 shown]
	v_cmp_eq_u32_e64 s[8:9], 1, v6
	v_cndmask_b32_e64 v5, v251, v253, s[8:9]
	v_cmp_eq_u32_e64 s[10:11], 2, v6
	v_cmp_eq_u32_e64 s[12:13], 3, v6
	;; [unrolled: 1-line block ×7, first 2 shown]
	v_cndmask_b32_e64 v6, v250, v252, s[8:9]
	v_cndmask_b32_e64 v5, v5, v255, s[10:11]
	;; [unrolled: 1-line block ×6, first 2 shown]
	s_waitcnt vmcnt(40)
	v_accvgpr_read_b32 v65, a153
	v_cndmask_b32_e64 v6, v6, v74, s[14:15]
	v_cndmask_b32_e64 v5, v5, v65, s[16:17]
	v_accvgpr_read_b32 v63, a141
	v_cndmask_b32_e64 v6, v6, v110, s[16:17]
	v_cndmask_b32_e64 v5, v5, v63, s[18:19]
	;; [unrolled: 1-line block ×3, first 2 shown]
	v_cmp_eq_u32_e64 s[24:25], 1, v11
	v_cmp_eq_u32_e64 s[26:27], 2, v11
	;; [unrolled: 1-line block ×8, first 2 shown]
	v_pk_mov_b32 v[82:83], v[26:27], v[26:27] op_sel:[0,1]
	v_pk_mov_b32 v[80:81], v[28:29], v[28:29] op_sel:[0,1]
	v_accvgpr_read_b32 v76, a254
	v_accvgpr_read_b32 v77, a255
	;; [unrolled: 1-line block ×10, first 2 shown]
	s_waitcnt vmcnt(32)
	v_accvgpr_read_b32 v73, a103
	v_accvgpr_read_b32 v71, a187
	;; [unrolled: 1-line block ×5, first 2 shown]
	s_waitcnt vmcnt(16)
	v_accvgpr_read_b32 v61, a41
	buffer_load_dword a26, off, s[0:3], 0 offset:864 ; 4-byte Folded Reload
	buffer_load_dword a27, off, s[0:3], 0 offset:868 ; 4-byte Folded Reload
	buffer_load_dword a28, off, s[0:3], 0 offset:872 ; 4-byte Folded Reload
	buffer_load_dword a29, off, s[0:3], 0 offset:876 ; 4-byte Folded Reload
	buffer_load_dword a30, off, s[0:3], 0 offset:880 ; 4-byte Folded Reload
	buffer_load_dword a31, off, s[0:3], 0 offset:884 ; 4-byte Folded Reload
	buffer_load_dword a32, off, s[0:3], 0 offset:888 ; 4-byte Folded Reload
	buffer_load_dword a33, off, s[0:3], 0 offset:892 ; 4-byte Folded Reload
	buffer_load_dword a34, off, s[0:3], 0 offset:896 ; 4-byte Folded Reload
	buffer_load_dword a35, off, s[0:3], 0 offset:900 ; 4-byte Folded Reload
	buffer_load_dword a36, off, s[0:3], 0 offset:904 ; 4-byte Folded Reload
	buffer_load_dword a37, off, s[0:3], 0 offset:908 ; 4-byte Folded Reload
	buffer_load_dword a38, off, s[0:3], 0 offset:912 ; 4-byte Folded Reload
	buffer_load_dword a39, off, s[0:3], 0 offset:916 ; 4-byte Folded Reload
	buffer_load_dword a40, off, s[0:3], 0 offset:920 ; 4-byte Folded Reload
	buffer_load_dword a41, off, s[0:3], 0 offset:924 ; 4-byte Folded Reload
	buffer_load_dword a42, off, s[0:3], 0 offset:928 ; 4-byte Folded Reload
	buffer_load_dword a43, off, s[0:3], 0 offset:932 ; 4-byte Folded Reload
	buffer_load_dword a44, off, s[0:3], 0 offset:936 ; 4-byte Folded Reload
	buffer_load_dword a45, off, s[0:3], 0 offset:940 ; 4-byte Folded Reload
	buffer_load_dword a46, off, s[0:3], 0 offset:944 ; 4-byte Folded Reload
	buffer_load_dword a47, off, s[0:3], 0 offset:948 ; 4-byte Folded Reload
	buffer_load_dword a48, off, s[0:3], 0 offset:952 ; 4-byte Folded Reload
	buffer_load_dword a49, off, s[0:3], 0 offset:956 ; 4-byte Folded Reload
	buffer_load_dword a50, off, s[0:3], 0 offset:960 ; 4-byte Folded Reload
	buffer_load_dword a51, off, s[0:3], 0 offset:964 ; 4-byte Folded Reload
	buffer_load_dword a52, off, s[0:3], 0 offset:968 ; 4-byte Folded Reload
	buffer_load_dword a53, off, s[0:3], 0 offset:972 ; 4-byte Folded Reload
	buffer_load_dword a54, off, s[0:3], 0 offset:976 ; 4-byte Folded Reload
	buffer_load_dword a55, off, s[0:3], 0 offset:980 ; 4-byte Folded Reload
	buffer_load_dword a56, off, s[0:3], 0 offset:984 ; 4-byte Folded Reload
	buffer_load_dword a57, off, s[0:3], 0 offset:988 ; 4-byte Folded Reload
	v_cndmask_b32_e64 v5, v5, v61, s[20:21]
	s_waitcnt vmcnt(17)
	v_accvgpr_read_b32 v56, a40
	buffer_load_dword a26, off, s[0:3], 0 offset:736 ; 4-byte Folded Reload
	buffer_load_dword a27, off, s[0:3], 0 offset:740 ; 4-byte Folded Reload
	buffer_load_dword a28, off, s[0:3], 0 offset:744 ; 4-byte Folded Reload
	buffer_load_dword a29, off, s[0:3], 0 offset:748 ; 4-byte Folded Reload
	buffer_load_dword a30, off, s[0:3], 0 offset:752 ; 4-byte Folded Reload
	buffer_load_dword a31, off, s[0:3], 0 offset:756 ; 4-byte Folded Reload
	buffer_load_dword a32, off, s[0:3], 0 offset:760 ; 4-byte Folded Reload
	buffer_load_dword a33, off, s[0:3], 0 offset:764 ; 4-byte Folded Reload
	buffer_load_dword a34, off, s[0:3], 0 offset:768 ; 4-byte Folded Reload
	buffer_load_dword a35, off, s[0:3], 0 offset:772 ; 4-byte Folded Reload
	buffer_load_dword a36, off, s[0:3], 0 offset:776 ; 4-byte Folded Reload
	buffer_load_dword a37, off, s[0:3], 0 offset:780 ; 4-byte Folded Reload
	buffer_load_dword a38, off, s[0:3], 0 offset:784 ; 4-byte Folded Reload
	buffer_load_dword a39, off, s[0:3], 0 offset:788 ; 4-byte Folded Reload
	buffer_load_dword a40, off, s[0:3], 0 offset:792 ; 4-byte Folded Reload
	buffer_load_dword a41, off, s[0:3], 0 offset:796 ; 4-byte Folded Reload
	buffer_load_dword a42, off, s[0:3], 0 offset:800 ; 4-byte Folded Reload
	buffer_load_dword a43, off, s[0:3], 0 offset:804 ; 4-byte Folded Reload
	buffer_load_dword a44, off, s[0:3], 0 offset:808 ; 4-byte Folded Reload
	buffer_load_dword a45, off, s[0:3], 0 offset:812 ; 4-byte Folded Reload
	buffer_load_dword a46, off, s[0:3], 0 offset:816 ; 4-byte Folded Reload
	buffer_load_dword a47, off, s[0:3], 0 offset:820 ; 4-byte Folded Reload
	buffer_load_dword a48, off, s[0:3], 0 offset:824 ; 4-byte Folded Reload
	buffer_load_dword a49, off, s[0:3], 0 offset:828 ; 4-byte Folded Reload
	buffer_load_dword a50, off, s[0:3], 0 offset:832 ; 4-byte Folded Reload
	buffer_load_dword a51, off, s[0:3], 0 offset:836 ; 4-byte Folded Reload
	buffer_load_dword a52, off, s[0:3], 0 offset:840 ; 4-byte Folded Reload
	buffer_load_dword a53, off, s[0:3], 0 offset:844 ; 4-byte Folded Reload
	buffer_load_dword a54, off, s[0:3], 0 offset:848 ; 4-byte Folded Reload
	buffer_load_dword a55, off, s[0:3], 0 offset:852 ; 4-byte Folded Reload
	buffer_load_dword a56, off, s[0:3], 0 offset:856 ; 4-byte Folded Reload
	buffer_load_dword a57, off, s[0:3], 0 offset:860 ; 4-byte Folded Reload
	v_cndmask_b32_e64 v6, v6, v56, s[20:21]
	;; [unrolled: 35-line block ×3, first 2 shown]
	v_cndmask_b32_e64 v5, v251, v253, s[24:25]
	v_cndmask_b32_e64 v5, v5, v255, s[26:27]
	;; [unrolled: 1-line block ×10, first 2 shown]
	s_waitcnt vmcnt(15)
	v_accvgpr_read_b32 v54, a42
	buffer_load_dword a26, off, s[0:3], 0 offset:224 ; 4-byte Folded Reload
	buffer_load_dword a27, off, s[0:3], 0 offset:228 ; 4-byte Folded Reload
	;; [unrolled: 1-line block ×32, first 2 shown]
	v_cndmask_b32_e64 v24, v6, v54, s[22:23]
	v_cndmask_b32_e64 v6, v250, v252, s[24:25]
	;; [unrolled: 1-line block ×9, first 2 shown]
	v_add_f64 v[8:9], -v[24:25], 0
	v_add_f64 v[14:15], v[26:27], -v[24:25]
	v_div_scale_f64 v[18:19], s[42:43], v[14:15], v[14:15], v[8:9]
	v_rcp_f64_e32 v[20:21], v[18:19]
	v_cndmask_b32_e64 v6, v102, v76, s[24:25]
	v_cndmask_b32_e64 v6, v6, v38, s[26:27]
	v_fma_f64 v[22:23], -v[18:19], v[20:21], 1.0
	v_fmac_f64_e32 v[20:21], v[20:21], v[22:23]
	v_fma_f64 v[22:23], -v[18:19], v[20:21], 1.0
	v_fmac_f64_e32 v[20:21], v[20:21], v[22:23]
	v_div_scale_f64 v[22:23], vcc, v[8:9], v[14:15], v[8:9]
	v_mul_f64 v[28:29], v[22:23], v[20:21]
	v_fma_f64 v[18:19], -v[18:19], v[28:29], v[22:23]
	s_nop 1
	v_div_fmas_f64 v[18:19], v[18:19], v[20:21], v[28:29]
	v_div_fixup_f64 v[28:29], v[18:19], v[14:15], v[8:9]
	v_add_f64 v[30:31], -v[28:29], 1.0
	v_mul_f64 v[24:25], v[24:25], v[30:31]
	v_fmac_f64_e32 v[24:25], v[26:27], v[28:29]
	v_cndmask_b32_e64 v26, v248, v32, s[8:9]
	v_cndmask_b32_e64 v26, v26, v204, s[10:11]
	v_cndmask_b32_e64 v26, v26, v98, s[12:13]
	v_cndmask_b32_e64 v26, v26, v132, s[14:15]
	v_cndmask_b32_e64 v26, v26, v226, s[16:17]
	v_cndmask_b32_e64 v26, v26, v184, s[18:19]
	v_cndmask_b32_e64 v26, v26, v170, s[20:21]
	v_cndmask_b32_e64 v26, v26, v16, s[22:23]
	s_waitcnt vmcnt(24)
	v_accvgpr_read_b32 v20, a32
	v_accvgpr_read_b32 v21, a33
	buffer_load_dword a26, off, s[0:3], 0 offset:96 ; 4-byte Folded Reload
	buffer_load_dword a27, off, s[0:3], 0 offset:100 ; 4-byte Folded Reload
	;; [unrolled: 1-line block ×32, first 2 shown]
	v_cndmask_b32_e64 v5, v5, v21, s[28:29]
	v_cndmask_b32_e64 v6, v6, v20, s[28:29]
	s_waitcnt vmcnt(22)
	v_accvgpr_read_b32 v22, a34
	v_accvgpr_read_b32 v23, a35
	buffer_load_dword a26, off, s[0:3], 0 offset:2144 ; 4-byte Folded Reload
	buffer_load_dword a27, off, s[0:3], 0 offset:2148 ; 4-byte Folded Reload
	;; [unrolled: 1-line block ×32, first 2 shown]
	v_cndmask_b32_e64 v5, v5, v23, s[30:31]
	v_cndmask_b32_e64 v5, v5, v45, s[34:35]
	;; [unrolled: 1-line block ×14, first 2 shown]
	s_waitcnt vmcnt(21)
	v_accvgpr_read_b32 v44, a36
	buffer_load_dword a26, off, s[0:3], 0 offset:2016 ; 4-byte Folded Reload
	buffer_load_dword a27, off, s[0:3], 0 offset:2020 ; 4-byte Folded Reload
	;; [unrolled: 1-line block ×32, first 2 shown]
	v_cndmask_b32_e64 v6, v6, v44, s[34:35]
	s_waitcnt vmcnt(19)
	v_accvgpr_read_b32 v42, a38
	buffer_load_dword a26, off, s[0:3], 0 offset:1888 ; 4-byte Folded Reload
	buffer_load_dword a27, off, s[0:3], 0 offset:1892 ; 4-byte Folded Reload
	;; [unrolled: 1-line block ×32, first 2 shown]
	v_cndmask_b32_e64 v6, v6, v42, s[36:37]
	s_waitcnt vmcnt(17)
	v_accvgpr_read_b32 v36, a40
	buffer_load_dword a26, off, s[0:3], 0 offset:1760 ; 4-byte Folded Reload
	buffer_load_dword a27, off, s[0:3], 0 offset:1764 ; 4-byte Folded Reload
	buffer_load_dword a28, off, s[0:3], 0 offset:1768 ; 4-byte Folded Reload
	buffer_load_dword a29, off, s[0:3], 0 offset:1772 ; 4-byte Folded Reload
	buffer_load_dword a30, off, s[0:3], 0 offset:1776 ; 4-byte Folded Reload
	buffer_load_dword a31, off, s[0:3], 0 offset:1780 ; 4-byte Folded Reload
	buffer_load_dword a32, off, s[0:3], 0 offset:1784 ; 4-byte Folded Reload
	buffer_load_dword a33, off, s[0:3], 0 offset:1788 ; 4-byte Folded Reload
	buffer_load_dword a34, off, s[0:3], 0 offset:1792 ; 4-byte Folded Reload
	buffer_load_dword a35, off, s[0:3], 0 offset:1796 ; 4-byte Folded Reload
	buffer_load_dword a36, off, s[0:3], 0 offset:1800 ; 4-byte Folded Reload
	buffer_load_dword a37, off, s[0:3], 0 offset:1804 ; 4-byte Folded Reload
	buffer_load_dword a38, off, s[0:3], 0 offset:1808 ; 4-byte Folded Reload
	buffer_load_dword a39, off, s[0:3], 0 offset:1812 ; 4-byte Folded Reload
	buffer_load_dword a40, off, s[0:3], 0 offset:1816 ; 4-byte Folded Reload
	buffer_load_dword a41, off, s[0:3], 0 offset:1820 ; 4-byte Folded Reload
	buffer_load_dword a42, off, s[0:3], 0 offset:1824 ; 4-byte Folded Reload
	buffer_load_dword a43, off, s[0:3], 0 offset:1828 ; 4-byte Folded Reload
	buffer_load_dword a44, off, s[0:3], 0 offset:1832 ; 4-byte Folded Reload
	buffer_load_dword a45, off, s[0:3], 0 offset:1836 ; 4-byte Folded Reload
	buffer_load_dword a46, off, s[0:3], 0 offset:1840 ; 4-byte Folded Reload
	buffer_load_dword a47, off, s[0:3], 0 offset:1844 ; 4-byte Folded Reload
	buffer_load_dword a48, off, s[0:3], 0 offset:1848 ; 4-byte Folded Reload
	buffer_load_dword a49, off, s[0:3], 0 offset:1852 ; 4-byte Folded Reload
	buffer_load_dword a50, off, s[0:3], 0 offset:1856 ; 4-byte Folded Reload
	buffer_load_dword a51, off, s[0:3], 0 offset:1860 ; 4-byte Folded Reload
	buffer_load_dword a52, off, s[0:3], 0 offset:1864 ; 4-byte Folded Reload
	buffer_load_dword a53, off, s[0:3], 0 offset:1868 ; 4-byte Folded Reload
	buffer_load_dword a54, off, s[0:3], 0 offset:1872 ; 4-byte Folded Reload
	buffer_load_dword a55, off, s[0:3], 0 offset:1876 ; 4-byte Folded Reload
	buffer_load_dword a56, off, s[0:3], 0 offset:1880 ; 4-byte Folded Reload
	buffer_load_dword a57, off, s[0:3], 0 offset:1884 ; 4-byte Folded Reload
	buffer_load_dword v5, off, s[0:3], 0 offset:84
	v_cndmask_b32_e64 v6, v6, v36, s[38:39]
	s_waitcnt vmcnt(16)
	v_accvgpr_read_b32 v18, a42
	buffer_load_dword a26, off, s[0:3], 0 offset:352 ; 4-byte Folded Reload
	buffer_load_dword a27, off, s[0:3], 0 offset:356 ; 4-byte Folded Reload
	;; [unrolled: 1-line block ×32, first 2 shown]
	v_cndmask_b32_e64 v8, v6, v18, s[40:41]
	v_cndmask_b32_e64 v6, v102, v76, s[8:9]
	;; [unrolled: 1-line block ×9, first 2 shown]
	v_mul_f64 v[34:35], v[14:15], v[30:31]
	v_fmac_f64_e32 v[34:35], v[8:9], v[28:29]
	v_cndmask_b32_e64 v8, v105, v83, s[24:25]
	v_cndmask_b32_e64 v8, v8, v81, s[26:27]
	s_waitcnt vmcnt(32)
	v_cmp_eq_u32_e64 s[50:51], 5, v5
	v_cmp_eq_u32_e64 s[42:43], 3, v5
	v_cndmask_b32_e64 v15, v45, v35, s[50:51]
	v_cndmask_b32_e64 v45, v21, v35, s[42:43]
	v_cmp_eq_u32_e64 s[44:45], 8, v5
	v_cmp_eq_u32_e64 s[48:49], 6, v5
	v_cmp_eq_u32_e32 vcc, 4, v5
	v_cndmask_b32_e64 v13, v42, v34, s[48:49]
	v_cndmask_b32_e64 v19, v17, v35, s[44:45]
	;; [unrolled: 1-line block ×3, first 2 shown]
	v_cndmask_b32_e32 v42, v22, v34, vcc
	v_cndmask_b32_e32 v43, v23, v35, vcc
	v_cndmask_b32_e64 v22, v104, v82, s[8:9]
	v_cndmask_b32_e64 v22, v22, v80, s[10:11]
	v_cmp_eq_u32_e64 s[46:47], 7, v5
	v_cndmask_b32_e64 v6, v18, v34, s[44:45]
	v_cndmask_b32_e64 v9, v36, v34, s[46:47]
	;; [unrolled: 1-line block ×8, first 2 shown]
	v_cndmask_b32_e32 v62, v74, v24, vcc
	v_cndmask_b32_e64 v40, v40, v24, s[42:43]
	v_cndmask_b32_e64 v41, v41, v25, s[42:43]
	s_waitcnt vmcnt(24)
	v_accvgpr_read_b32 v53, a33
	v_accvgpr_read_b32 v52, a32
	buffer_load_dword a26, off, s[0:3], 0 offset:608 ; 4-byte Folded Reload
	buffer_load_dword a27, off, s[0:3], 0 offset:612 ; 4-byte Folded Reload
	;; [unrolled: 1-line block ×64, first 2 shown]
	v_cndmask_b32_e64 v8, v8, v53, s[28:29]
	v_cndmask_b32_e64 v22, v22, v52, s[12:13]
	;; [unrolled: 1-line block ×3, first 2 shown]
	s_waitcnt vmcnt(54)
	v_accvgpr_read_b32 v51, a35
	s_waitcnt vmcnt(16)
	v_accvgpr_read_b32 v49, a15
	buffer_load_dword a0, off, s[0:3], 0 offset:1504 ; 4-byte Folded Reload
	buffer_load_dword a1, off, s[0:3], 0 offset:1508 ; 4-byte Folded Reload
	;; [unrolled: 1-line block ×32, first 2 shown]
	v_cndmask_b32_e64 v8, v8, v51, s[30:31]
	v_cndmask_b32_e64 v8, v8, v57, s[34:35]
	;; [unrolled: 1-line block ×4, first 2 shown]
	v_accvgpr_read_b32 v50, a34
	v_cndmask_b32_e64 v22, v22, v50, s[14:15]
	v_cndmask_b32_e64 v20, v20, v50, s[30:31]
	s_waitcnt vmcnt(21)
	v_accvgpr_read_b32 v60, a10
	buffer_load_dword a0, off, s[0:3], 0 offset:1376 ; 4-byte Folded Reload
	buffer_load_dword a1, off, s[0:3], 0 offset:1380 ; 4-byte Folded Reload
	buffer_load_dword a2, off, s[0:3], 0 offset:1384 ; 4-byte Folded Reload
	buffer_load_dword a3, off, s[0:3], 0 offset:1388 ; 4-byte Folded Reload
	buffer_load_dword a4, off, s[0:3], 0 offset:1392 ; 4-byte Folded Reload
	buffer_load_dword a5, off, s[0:3], 0 offset:1396 ; 4-byte Folded Reload
	buffer_load_dword a6, off, s[0:3], 0 offset:1400 ; 4-byte Folded Reload
	buffer_load_dword a7, off, s[0:3], 0 offset:1404 ; 4-byte Folded Reload
	buffer_load_dword a8, off, s[0:3], 0 offset:1408 ; 4-byte Folded Reload
	buffer_load_dword a9, off, s[0:3], 0 offset:1412 ; 4-byte Folded Reload
	buffer_load_dword a10, off, s[0:3], 0 offset:1416 ; 4-byte Folded Reload
	buffer_load_dword a11, off, s[0:3], 0 offset:1420 ; 4-byte Folded Reload
	buffer_load_dword a12, off, s[0:3], 0 offset:1424 ; 4-byte Folded Reload
	buffer_load_dword a13, off, s[0:3], 0 offset:1428 ; 4-byte Folded Reload
	buffer_load_dword a14, off, s[0:3], 0 offset:1432 ; 4-byte Folded Reload
	buffer_load_dword a15, off, s[0:3], 0 offset:1436 ; 4-byte Folded Reload
	buffer_load_dword a16, off, s[0:3], 0 offset:1440 ; 4-byte Folded Reload
	buffer_load_dword a17, off, s[0:3], 0 offset:1444 ; 4-byte Folded Reload
	buffer_load_dword a18, off, s[0:3], 0 offset:1448 ; 4-byte Folded Reload
	buffer_load_dword a19, off, s[0:3], 0 offset:1452 ; 4-byte Folded Reload
	buffer_load_dword a20, off, s[0:3], 0 offset:1456 ; 4-byte Folded Reload
	buffer_load_dword a21, off, s[0:3], 0 offset:1460 ; 4-byte Folded Reload
	buffer_load_dword a22, off, s[0:3], 0 offset:1464 ; 4-byte Folded Reload
	buffer_load_dword a23, off, s[0:3], 0 offset:1468 ; 4-byte Folded Reload
	buffer_load_dword a24, off, s[0:3], 0 offset:1472 ; 4-byte Folded Reload
	buffer_load_dword a25, off, s[0:3], 0 offset:1476 ; 4-byte Folded Reload
	buffer_load_dword a26, off, s[0:3], 0 offset:1480 ; 4-byte Folded Reload
	buffer_load_dword a27, off, s[0:3], 0 offset:1484 ; 4-byte Folded Reload
	buffer_load_dword a28, off, s[0:3], 0 offset:1488 ; 4-byte Folded Reload
	buffer_load_dword a29, off, s[0:3], 0 offset:1492 ; 4-byte Folded Reload
	buffer_load_dword a30, off, s[0:3], 0 offset:1496 ; 4-byte Folded Reload
	buffer_load_dword a31, off, s[0:3], 0 offset:1500 ; 4-byte Folded Reload
	v_cndmask_b32_e64 v22, v22, v60, s[16:17]
	v_cndmask_b32_e64 v20, v20, v60, s[34:35]
	s_waitcnt vmcnt(19)
	v_accvgpr_read_b32 v58, a12
	buffer_load_dword a0, off, s[0:3], 0 offset:1120 ; 4-byte Folded Reload
	buffer_load_dword a1, off, s[0:3], 0 offset:1124 ; 4-byte Folded Reload
	buffer_load_dword a2, off, s[0:3], 0 offset:1128 ; 4-byte Folded Reload
	buffer_load_dword a3, off, s[0:3], 0 offset:1132 ; 4-byte Folded Reload
	buffer_load_dword a4, off, s[0:3], 0 offset:1136 ; 4-byte Folded Reload
	buffer_load_dword a5, off, s[0:3], 0 offset:1140 ; 4-byte Folded Reload
	buffer_load_dword a6, off, s[0:3], 0 offset:1144 ; 4-byte Folded Reload
	buffer_load_dword a7, off, s[0:3], 0 offset:1148 ; 4-byte Folded Reload
	buffer_load_dword a8, off, s[0:3], 0 offset:1152 ; 4-byte Folded Reload
	buffer_load_dword a9, off, s[0:3], 0 offset:1156 ; 4-byte Folded Reload
	buffer_load_dword a10, off, s[0:3], 0 offset:1160 ; 4-byte Folded Reload
	buffer_load_dword a11, off, s[0:3], 0 offset:1164 ; 4-byte Folded Reload
	buffer_load_dword a12, off, s[0:3], 0 offset:1168 ; 4-byte Folded Reload
	buffer_load_dword a13, off, s[0:3], 0 offset:1172 ; 4-byte Folded Reload
	buffer_load_dword a14, off, s[0:3], 0 offset:1176 ; 4-byte Folded Reload
	buffer_load_dword a15, off, s[0:3], 0 offset:1180 ; 4-byte Folded Reload
	buffer_load_dword a16, off, s[0:3], 0 offset:1184 ; 4-byte Folded Reload
	buffer_load_dword a17, off, s[0:3], 0 offset:1188 ; 4-byte Folded Reload
	buffer_load_dword a18, off, s[0:3], 0 offset:1192 ; 4-byte Folded Reload
	buffer_load_dword a19, off, s[0:3], 0 offset:1196 ; 4-byte Folded Reload
	buffer_load_dword a20, off, s[0:3], 0 offset:1200 ; 4-byte Folded Reload
	buffer_load_dword a21, off, s[0:3], 0 offset:1204 ; 4-byte Folded Reload
	buffer_load_dword a22, off, s[0:3], 0 offset:1208 ; 4-byte Folded Reload
	buffer_load_dword a23, off, s[0:3], 0 offset:1212 ; 4-byte Folded Reload
	buffer_load_dword a24, off, s[0:3], 0 offset:1216 ; 4-byte Folded Reload
	buffer_load_dword a25, off, s[0:3], 0 offset:1220 ; 4-byte Folded Reload
	buffer_load_dword a26, off, s[0:3], 0 offset:1224 ; 4-byte Folded Reload
	buffer_load_dword a27, off, s[0:3], 0 offset:1228 ; 4-byte Folded Reload
	buffer_load_dword a28, off, s[0:3], 0 offset:1232 ; 4-byte Folded Reload
	buffer_load_dword a29, off, s[0:3], 0 offset:1236 ; 4-byte Folded Reload
	buffer_load_dword a30, off, s[0:3], 0 offset:1240 ; 4-byte Folded Reload
	buffer_load_dword a31, off, s[0:3], 0 offset:1244 ; 4-byte Folded Reload
	;; [unrolled: 36-line block ×3, first 2 shown]
	v_cndmask_b32_e64 v22, v22, v48, s[20:21]
	v_cndmask_b32_e64 v22, v22, v46, s[22:23]
	;; [unrolled: 1-line block ×4, first 2 shown]
	s_waitcnt vmcnt(14)
	v_accvgpr_read_b32 v47, a17
	v_cndmask_b32_e64 v21, v8, v47, s[40:41]
	v_cndmask_b32_e64 v8, v105, v83, s[8:9]
	;; [unrolled: 1-line block ×17, first 2 shown]
	v_mul_f64 v[36:37], v[22:23], v[30:31]
	v_mul_f64 v[26:27], v[26:27], v[30:31]
	v_cndmask_b32_e64 v8, v249, v33, s[24:25]
	v_cndmask_b32_e64 v30, v248, v32, s[24:25]
	;; [unrolled: 1-line block ×16, first 2 shown]
	v_fmac_f64_e32 v[36:37], v[20:21], v[28:29]
	v_fmac_f64_e32 v[26:27], v[30:31], v[28:29]
	v_mov_b32_e32 v28, 0
	v_lshl_add_u32 v8, v5, 2, v28
	buffer_load_dword v8, v8, s[0:3], 0 offen offset:40
	v_cndmask_b32_e64 v70, v73, v27, s[50:51]
	v_cndmask_b32_e64 v23, v46, v36, s[44:45]
	v_cndmask_b32_e64 v22, v48, v36, s[46:47]
	v_cndmask_b32_e64 v21, v58, v36, s[48:49]
	v_cndmask_b32_e64 v46, v47, v37, s[44:45]
	v_cndmask_b32_e64 v47, v49, v37, s[46:47]
	v_cndmask_b32_e64 v48, v55, v37, s[48:49]
	v_cndmask_b32_e64 v55, v56, v24, s[46:47]
	v_cndmask_b32_e64 v58, v59, v25, s[44:45]
	v_cndmask_b32_e64 v59, v61, v25, s[46:47]
	v_cndmask_b32_e64 v16, v16, v26, s[44:45]
	v_cndmask_b32_e64 v64, v170, v26, s[46:47]
	v_cndmask_b32_e64 v67, v67, v27, s[44:45]
	v_cndmask_b32_e64 v68, v69, v27, s[46:47]
	v_cmp_eq_u32_e64 s[8:9], 2, v5
	v_cmp_eq_u32_e64 s[44:45], 1, v5
	;; [unrolled: 1-line block ×3, first 2 shown]
	v_cndmask_b32_e64 v20, v60, v36, s[50:51]
	v_cndmask_b32_e64 v60, v63, v25, s[48:49]
	v_cndmask_b32_e32 v63, v75, v25, vcc
	v_cndmask_b32_e64 v69, v71, v27, s[48:49]
	v_cndmask_b32_e64 v71, v38, v34, s[8:9]
	;; [unrolled: 1-line block ×13, first 2 shown]
	v_cmp_eq_u32_e64 s[8:9], 1, v4
	v_cndmask_b32_e64 v49, v57, v37, s[50:51]
	v_cndmask_b32_e64 v56, v146, v24, s[48:49]
	;; [unrolled: 1-line block ×4, first 2 shown]
	v_cmp_eq_u32_e64 s[10:11], 2, v4
	v_cmp_eq_u32_e64 s[12:13], 3, v4
	;; [unrolled: 1-line block ×7, first 2 shown]
	v_cndmask_b32_e64 v4, v86, v85, s[8:9]
	v_cndmask_b32_e64 v24, v24, v87, s[10:11]
	;; [unrolled: 1-line block ×14, first 2 shown]
	v_cmp_eq_u32_e64 s[24:25], 1, v12
	v_cndmask_b32_e64 v25, v24, v58, s[22:23]
	v_cndmask_b32_e64 v24, v4, v54, s[22:23]
	;; [unrolled: 1-line block ×3, first 2 shown]
	v_cmp_eq_u32_e64 s[26:27], 2, v12
	v_cndmask_b32_e64 v4, v4, v87, s[26:27]
	v_cmp_eq_u32_e64 s[28:29], 3, v12
	v_cndmask_b32_e64 v4, v4, v41, s[28:29]
	;; [unrolled: 2-line block ×7, first 2 shown]
	v_cndmask_b32_e64 v4, v86, v85, s[24:25]
	v_cndmask_b32_e64 v4, v4, v84, s[26:27]
	s_waitcnt vmcnt(0)
	v_lshl_add_u32 v28, v8, 2, v28
	buffer_load_dword v73, v28, s[0:3], 0 offen offset:40
	v_cndmask_b32_e64 v4, v4, v40, s[28:29]
	v_cndmask_b32_e64 v4, v4, v62, s[30:31]
	;; [unrolled: 1-line block ×10, first 2 shown]
	v_add_f64 v[28:29], -v[24:25], 0
	v_add_f64 v[34:35], v[30:31], -v[24:25]
	v_cndmask_b32_e32 v50, v50, v36, vcc
	v_cndmask_b32_e32 v51, v51, v37, vcc
	v_cndmask_b32_e64 v52, v52, v36, s[42:43]
	v_cndmask_b32_e64 v53, v53, v37, s[42:43]
	;; [unrolled: 1-line block ×8, first 2 shown]
	v_div_scale_f64 v[36:37], s[42:43], v[34:35], v[34:35], v[28:29]
	v_rcp_f64_e32 v[38:39], v[36:37]
	v_cndmask_b32_e64 v65, v184, v26, s[48:49]
	v_cndmask_b32_e64 v66, v226, v26, s[50:51]
	v_cndmask_b32_e32 v90, v132, v26, vcc
	v_cndmask_b32_e64 v93, v32, v26, s[44:45]
	v_cndmask_b32_e64 v94, v248, v26, s[46:47]
	v_cndmask_b32_e32 v95, v133, v27, vcc
	v_cndmask_b32_e64 v4, v33, v27, s[44:45]
	v_cndmask_b32_e64 v100, v249, v27, s[46:47]
	v_fma_f64 v[26:27], -v[36:37], v[38:39], 1.0
	v_fmac_f64_e32 v[38:39], v[38:39], v[26:27]
	v_fma_f64 v[26:27], -v[36:37], v[38:39], 1.0
	v_fmac_f64_e32 v[38:39], v[38:39], v[26:27]
	v_div_scale_f64 v[26:27], vcc, v[28:29], v[34:35], v[28:29]
	v_mul_f64 v[32:33], v[26:27], v[38:39]
	v_fma_f64 v[26:27], -v[36:37], v[32:33], v[26:27]
	v_cmp_eq_u32_e64 s[42:43], 3, v8
	s_nop 0
	v_div_fmas_f64 v[26:27], v[26:27], v[38:39], v[32:33]
	v_cndmask_b32_e64 v32, v77, v76, s[8:9]
	v_div_fixup_f64 v[26:27], v[26:27], v[34:35], v[28:29]
	v_cndmask_b32_e64 v28, v77, v76, s[24:25]
	v_cndmask_b32_e64 v32, v32, v75, s[10:11]
	;; [unrolled: 1-line block ×30, first 2 shown]
	v_add_f64 v[34:35], -v[26:27], 1.0
	v_cndmask_b32_e64 v28, v28, v6, s[40:41]
	v_mul_f64 v[36:37], v[32:33], v[34:35]
	v_fmac_f64_e32 v[36:37], v[28:29], v[26:27]
	v_cmp_eq_u32_e32 vcc, 4, v8
	v_cndmask_b32_e32 v29, v43, v37, vcc
	v_cndmask_b32_e32 v28, v42, v36, vcc
	s_waitcnt vmcnt(0)
	buffer_store_dword v73, off, s[0:3], 0 offset:84
	buffer_store_dword v20, off, s[0:3], 0 offset:96 ; 4-byte Folded Spill
	s_nop 0
	buffer_store_dword v21, off, s[0:3], 0 offset:100 ; 4-byte Folded Spill
	buffer_store_dword v22, off, s[0:3], 0 offset:104 ; 4-byte Folded Spill
	;; [unrolled: 1-line block ×31, first 2 shown]
	v_cmp_eq_u32_e64 s[44:45], 2, v8
	v_cmp_eq_u32_e64 s[46:47], 1, v8
	;; [unrolled: 1-line block ×3, first 2 shown]
	v_cndmask_b32_e64 v29, v45, v37, s[42:43]
	v_cndmask_b32_e64 v28, v44, v36, s[42:43]
	buffer_store_dword v22, off, s[0:3], 0 offset:224 ; 4-byte Folded Spill
	s_nop 0
	buffer_store_dword v23, off, s[0:3], 0 offset:228 ; 4-byte Folded Spill
	buffer_store_dword v24, off, s[0:3], 0 offset:232 ; 4-byte Folded Spill
	;; [unrolled: 1-line block ×31, first 2 shown]
	v_cndmask_b32_e64 v32, v83, v82, s[8:9]
	v_cndmask_b32_e64 v32, v32, v81, s[10:11]
	;; [unrolled: 1-line block ×4, first 2 shown]
	v_accvgpr_write_b32 a251, v29
	v_accvgpr_write_b32 a250, v28
	v_cndmask_b32_e64 v29, v76, v37, s[46:47]
	v_cndmask_b32_e64 v28, v72, v36, s[46:47]
	v_accvgpr_write_b32 a255, v29
	v_accvgpr_write_b32 a254, v28
	v_cndmask_b32_e64 v28, v83, v82, s[24:25]
	v_cndmask_b32_e64 v28, v28, v81, s[26:27]
	;; [unrolled: 1-line block ×29, first 2 shown]
	v_mul_f64 v[24:25], v[24:25], v[34:35]
	v_cndmask_b32_e64 v28, v28, v23, s[40:41]
	v_mul_f64 v[38:39], v[32:33], v[34:35]
	v_fmac_f64_e32 v[24:25], v[30:31], v[26:27]
	v_cndmask_b32_e64 v30, v100, v4, s[8:9]
	v_fmac_f64_e32 v[38:39], v[28:29], v[26:27]
	v_cndmask_b32_e64 v28, v100, v4, s[24:25]
	v_cndmask_b32_e64 v30, v30, v97, s[10:11]
	;; [unrolled: 1-line block ×31, first 2 shown]
	v_mul_f64 v[30:31], v[30:31], v[34:35]
	v_fmac_f64_e32 v[30:31], v[28:29], v[26:27]
	v_cndmask_b32_e32 v27, v51, v39, vcc
	v_cndmask_b32_e32 v26, v50, v38, vcc
	v_cndmask_b32_e64 v103, v77, v37, s[48:49]
	v_cndmask_b32_e64 v102, v74, v36, s[48:49]
	buffer_store_dword v18, off, s[0:3], 0 offset:608 ; 4-byte Folded Spill
	s_nop 0
	buffer_store_dword v19, off, s[0:3], 0 offset:612 ; 4-byte Folded Spill
	buffer_store_dword v20, off, s[0:3], 0 offset:616 ; 4-byte Folded Spill
	;; [unrolled: 1-line block ×31, first 2 shown]
	v_cmp_eq_u32_e64 s[12:13], 8, v8
	v_cmp_eq_u32_e64 s[8:9], 6, v8
	;; [unrolled: 1-line block ×3, first 2 shown]
	v_cndmask_b32_e64 v27, v53, v39, s[42:43]
	v_cndmask_b32_e64 v26, v52, v38, s[42:43]
	buffer_store_dword v20, off, s[0:3], 0 offset:352 ; 4-byte Folded Spill
	s_nop 0
	buffer_store_dword v21, off, s[0:3], 0 offset:356 ; 4-byte Folded Spill
	buffer_store_dword v22, off, s[0:3], 0 offset:360 ; 4-byte Folded Spill
	;; [unrolled: 1-line block ×31, first 2 shown]
	v_cndmask_b32_e64 v29, v81, v39, s[44:45]
	v_cndmask_b32_e64 v28, v78, v38, s[44:45]
	;; [unrolled: 1-line block ×12, first 2 shown]
	v_cndmask_b32_e32 v75, v63, v25, vcc
	v_cndmask_b32_e32 v74, v62, v24, vcc
	v_cndmask_b32_e64 v255, v87, v25, s[44:45]
	v_cndmask_b32_e64 v254, v84, v24, s[44:45]
	;; [unrolled: 1-line block ×6, first 2 shown]
	v_cndmask_b32_e32 v133, v95, v31, vcc
	v_cndmask_b32_e32 v132, v90, v30, vcc
	v_cndmask_b32_e64 v99, v96, v31, s[42:43]
	v_cndmask_b32_e64 v98, v91, v30, s[42:43]
	;; [unrolled: 1-line block ×6, first 2 shown]
	v_accvgpr_write_b32 a205, v19
	buffer_store_dword v18, off, s[0:3], 0 offset:1760 ; 4-byte Folded Spill
	s_nop 0
	buffer_store_dword v19, off, s[0:3], 0 offset:1764 ; 4-byte Folded Spill
	buffer_store_dword v20, off, s[0:3], 0 offset:1768 ; 4-byte Folded Spill
	;; [unrolled: 1-line block ×31, first 2 shown]
	v_cmp_eq_u32_e32 vcc, 7, v8
	v_cndmask_b32_e32 v19, v18, v37, vcc
	v_cndmask_b32_e32 v18, v9, v36, vcc
	v_accvgpr_write_b32 a169, v19
	buffer_store_dword v4, off, s[0:3], 0 offset:1888 ; 4-byte Folded Spill
	s_nop 0
	buffer_store_dword v5, off, s[0:3], 0 offset:1892 ; 4-byte Folded Spill
	buffer_store_dword v6, off, s[0:3], 0 offset:1896 ; 4-byte Folded Spill
	;; [unrolled: 1-line block ×31, first 2 shown]
	v_cndmask_b32_e64 v17, v17, v37, s[8:9]
	v_cndmask_b32_e64 v18, v13, v36, s[8:9]
	v_accvgpr_write_b32 a117, v17
	buffer_store_dword v6, off, s[0:3], 0 offset:2016 ; 4-byte Folded Spill
	s_nop 0
	buffer_store_dword v7, off, s[0:3], 0 offset:2020 ; 4-byte Folded Spill
	buffer_store_dword v8, off, s[0:3], 0 offset:2024 ; 4-byte Folded Spill
	;; [unrolled: 1-line block ×31, first 2 shown]
	v_cndmask_b32_e64 v13, v15, v37, s[10:11]
	v_cndmask_b32_e64 v14, v14, v36, s[10:11]
	v_accvgpr_write_b32 a217, v13
	buffer_store_dword v4, off, s[0:3], 0 offset:2144 ; 4-byte Folded Spill
	s_nop 0
	buffer_store_dword v5, off, s[0:3], 0 offset:2148 ; 4-byte Folded Spill
	buffer_store_dword v6, off, s[0:3], 0 offset:2152 ; 4-byte Folded Spill
	;; [unrolled: 1-line block ×31, first 2 shown]
	v_cndmask_b32_e64 v17, v46, v39, s[12:13]
	buffer_store_dword v0, off, s[0:3], 0 offset:1248 ; 4-byte Folded Spill
	s_nop 0
	buffer_store_dword v1, off, s[0:3], 0 offset:1252 ; 4-byte Folded Spill
	buffer_store_dword v2, off, s[0:3], 0 offset:1256 ; 4-byte Folded Spill
	;; [unrolled: 1-line block ×31, first 2 shown]
	v_cndmask_b32_e32 v15, v47, v39, vcc
	v_cndmask_b32_e64 v18, v23, v38, s[12:13]
	v_accvgpr_write_b32 a58, v18
	buffer_store_dword v0, off, s[0:3], 0 offset:1632 ; 4-byte Folded Spill
	s_nop 0
	buffer_store_dword v1, off, s[0:3], 0 offset:1636 ; 4-byte Folded Spill
	buffer_store_dword v2, off, s[0:3], 0 offset:1640 ; 4-byte Folded Spill
	;; [unrolled: 1-line block ×31, first 2 shown]
	v_cndmask_b32_e32 v14, v22, v38, vcc
	buffer_store_dword v0, off, s[0:3], 0 offset:1120 ; 4-byte Folded Spill
	s_nop 0
	buffer_store_dword v1, off, s[0:3], 0 offset:1124 ; 4-byte Folded Spill
	buffer_store_dword v2, off, s[0:3], 0 offset:1128 ; 4-byte Folded Spill
	buffer_store_dword v3, off, s[0:3], 0 offset:1132 ; 4-byte Folded Spill
	buffer_store_dword v4, off, s[0:3], 0 offset:1136 ; 4-byte Folded Spill
	buffer_store_dword v5, off, s[0:3], 0 offset:1140 ; 4-byte Folded Spill
	buffer_store_dword v6, off, s[0:3], 0 offset:1144 ; 4-byte Folded Spill
	buffer_store_dword v7, off, s[0:3], 0 offset:1148 ; 4-byte Folded Spill
	buffer_store_dword v8, off, s[0:3], 0 offset:1152 ; 4-byte Folded Spill
	buffer_store_dword v9, off, s[0:3], 0 offset:1156 ; 4-byte Folded Spill
	buffer_store_dword v10, off, s[0:3], 0 offset:1160 ; 4-byte Folded Spill
	buffer_store_dword v11, off, s[0:3], 0 offset:1164 ; 4-byte Folded Spill
	buffer_store_dword v12, off, s[0:3], 0 offset:1168 ; 4-byte Folded Spill
	buffer_store_dword v13, off, s[0:3], 0 offset:1172 ; 4-byte Folded Spill
	buffer_store_dword v14, off, s[0:3], 0 offset:1176 ; 4-byte Folded Spill
	buffer_store_dword v15, off, s[0:3], 0 offset:1180 ; 4-byte Folded Spill
	buffer_store_dword v16, off, s[0:3], 0 offset:1184 ; 4-byte Folded Spill
	buffer_store_dword v17, off, s[0:3], 0 offset:1188 ; 4-byte Folded Spill
	buffer_store_dword v18, off, s[0:3], 0 offset:1192 ; 4-byte Folded Spill
	buffer_store_dword v19, off, s[0:3], 0 offset:1196 ; 4-byte Folded Spill
	buffer_store_dword v20, off, s[0:3], 0 offset:1200 ; 4-byte Folded Spill
	buffer_store_dword v21, off, s[0:3], 0 offset:1204 ; 4-byte Folded Spill
	buffer_store_dword v22, off, s[0:3], 0 offset:1208 ; 4-byte Folded Spill
	buffer_store_dword v23, off, s[0:3], 0 offset:1212 ; 4-byte Folded Spill
	buffer_store_dword v24, off, s[0:3], 0 offset:1216 ; 4-byte Folded Spill
	buffer_store_dword v25, off, s[0:3], 0 offset:1220 ; 4-byte Folded Spill
	buffer_store_dword v26, off, s[0:3], 0 offset:1224 ; 4-byte Folded Spill
	buffer_store_dword v27, off, s[0:3], 0 offset:1228 ; 4-byte Folded Spill
	buffer_store_dword v28, off, s[0:3], 0 offset:1232 ; 4-byte Folded Spill
	buffer_store_dword v29, off, s[0:3], 0 offset:1236 ; 4-byte Folded Spill
	buffer_store_dword v30, off, s[0:3], 0 offset:1240 ; 4-byte Folded Spill
	buffer_store_dword v31, off, s[0:3], 0 offset:1244 ; 4-byte Folded Spill
	v_cndmask_b32_e64 v13, v48, v39, s[8:9]
	v_accvgpr_write_b32 a13, v13
	v_cndmask_b32_e64 v14, v21, v38, s[8:9]
	buffer_store_dword v2, off, s[0:3], 0 offset:1376 ; 4-byte Folded Spill
	s_nop 0
	buffer_store_dword v3, off, s[0:3], 0 offset:1380 ; 4-byte Folded Spill
	buffer_store_dword v4, off, s[0:3], 0 offset:1384 ; 4-byte Folded Spill
	;; [unrolled: 1-line block ×31, first 2 shown]
	v_cndmask_b32_e64 v13, v49, v39, s[10:11]
	v_accvgpr_write_b32 a25, v13
	v_cndmask_b32_e64 v14, v20, v38, s[10:11]
	buffer_store_dword v4, off, s[0:3], 0 offset:1504 ; 4-byte Folded Spill
	s_nop 0
	buffer_store_dword v5, off, s[0:3], 0 offset:1508 ; 4-byte Folded Spill
	buffer_store_dword v6, off, s[0:3], 0 offset:1512 ; 4-byte Folded Spill
	buffer_store_dword v7, off, s[0:3], 0 offset:1516 ; 4-byte Folded Spill
	buffer_store_dword v8, off, s[0:3], 0 offset:1520 ; 4-byte Folded Spill
	buffer_store_dword v9, off, s[0:3], 0 offset:1524 ; 4-byte Folded Spill
	buffer_store_dword v10, off, s[0:3], 0 offset:1528 ; 4-byte Folded Spill
	buffer_store_dword v11, off, s[0:3], 0 offset:1532 ; 4-byte Folded Spill
	buffer_store_dword v12, off, s[0:3], 0 offset:1536 ; 4-byte Folded Spill
	buffer_store_dword v13, off, s[0:3], 0 offset:1540 ; 4-byte Folded Spill
	buffer_store_dword v14, off, s[0:3], 0 offset:1544 ; 4-byte Folded Spill
	buffer_store_dword v15, off, s[0:3], 0 offset:1548 ; 4-byte Folded Spill
	buffer_store_dword v16, off, s[0:3], 0 offset:1552 ; 4-byte Folded Spill
	buffer_store_dword v17, off, s[0:3], 0 offset:1556 ; 4-byte Folded Spill
	buffer_store_dword v18, off, s[0:3], 0 offset:1560 ; 4-byte Folded Spill
	buffer_store_dword v19, off, s[0:3], 0 offset:1564 ; 4-byte Folded Spill
	buffer_store_dword v20, off, s[0:3], 0 offset:1568 ; 4-byte Folded Spill
	buffer_store_dword v21, off, s[0:3], 0 offset:1572 ; 4-byte Folded Spill
	buffer_store_dword v22, off, s[0:3], 0 offset:1576 ; 4-byte Folded Spill
	buffer_store_dword v23, off, s[0:3], 0 offset:1580 ; 4-byte Folded Spill
	buffer_store_dword v24, off, s[0:3], 0 offset:1584 ; 4-byte Folded Spill
	buffer_store_dword v25, off, s[0:3], 0 offset:1588 ; 4-byte Folded Spill
	buffer_store_dword v26, off, s[0:3], 0 offset:1592 ; 4-byte Folded Spill
	buffer_store_dword v27, off, s[0:3], 0 offset:1596 ; 4-byte Folded Spill
	buffer_store_dword v28, off, s[0:3], 0 offset:1600 ; 4-byte Folded Spill
	buffer_store_dword v29, off, s[0:3], 0 offset:1604 ; 4-byte Folded Spill
	buffer_store_dword v30, off, s[0:3], 0 offset:1608 ; 4-byte Folded Spill
	buffer_store_dword v31, off, s[0:3], 0 offset:1612 ; 4-byte Folded Spill
	buffer_store_dword v32, off, s[0:3], 0 offset:1616 ; 4-byte Folded Spill
	buffer_store_dword v33, off, s[0:3], 0 offset:1620 ; 4-byte Folded Spill
	buffer_store_dword v34, off, s[0:3], 0 offset:1624 ; 4-byte Folded Spill
	buffer_store_dword v35, off, s[0:3], 0 offset:1628 ; 4-byte Folded Spill
	v_cndmask_b32_e64 v17, v58, v25, s[12:13]
	buffer_store_dword v0, off, s[0:3], 0 offset:736 ; 4-byte Folded Spill
	s_nop 0
	buffer_store_dword v1, off, s[0:3], 0 offset:740 ; 4-byte Folded Spill
	buffer_store_dword v2, off, s[0:3], 0 offset:744 ; 4-byte Folded Spill
	buffer_store_dword v3, off, s[0:3], 0 offset:748 ; 4-byte Folded Spill
	buffer_store_dword v4, off, s[0:3], 0 offset:752 ; 4-byte Folded Spill
	buffer_store_dword v5, off, s[0:3], 0 offset:756 ; 4-byte Folded Spill
	buffer_store_dword v6, off, s[0:3], 0 offset:760 ; 4-byte Folded Spill
	buffer_store_dword v7, off, s[0:3], 0 offset:764 ; 4-byte Folded Spill
	buffer_store_dword v8, off, s[0:3], 0 offset:768 ; 4-byte Folded Spill
	buffer_store_dword v9, off, s[0:3], 0 offset:772 ; 4-byte Folded Spill
	buffer_store_dword v10, off, s[0:3], 0 offset:776 ; 4-byte Folded Spill
	buffer_store_dword v11, off, s[0:3], 0 offset:780 ; 4-byte Folded Spill
	buffer_store_dword v12, off, s[0:3], 0 offset:784 ; 4-byte Folded Spill
	buffer_store_dword v13, off, s[0:3], 0 offset:788 ; 4-byte Folded Spill
	buffer_store_dword v14, off, s[0:3], 0 offset:792 ; 4-byte Folded Spill
	buffer_store_dword v15, off, s[0:3], 0 offset:796 ; 4-byte Folded Spill
	buffer_store_dword v16, off, s[0:3], 0 offset:800 ; 4-byte Folded Spill
	buffer_store_dword v17, off, s[0:3], 0 offset:804 ; 4-byte Folded Spill
	buffer_store_dword v18, off, s[0:3], 0 offset:808 ; 4-byte Folded Spill
	buffer_store_dword v19, off, s[0:3], 0 offset:812 ; 4-byte Folded Spill
	buffer_store_dword v20, off, s[0:3], 0 offset:816 ; 4-byte Folded Spill
	buffer_store_dword v21, off, s[0:3], 0 offset:820 ; 4-byte Folded Spill
	buffer_store_dword v22, off, s[0:3], 0 offset:824 ; 4-byte Folded Spill
	buffer_store_dword v23, off, s[0:3], 0 offset:828 ; 4-byte Folded Spill
	buffer_store_dword v24, off, s[0:3], 0 offset:832 ; 4-byte Folded Spill
	buffer_store_dword v25, off, s[0:3], 0 offset:836 ; 4-byte Folded Spill
	buffer_store_dword v26, off, s[0:3], 0 offset:840 ; 4-byte Folded Spill
	buffer_store_dword v27, off, s[0:3], 0 offset:844 ; 4-byte Folded Spill
	buffer_store_dword v28, off, s[0:3], 0 offset:848 ; 4-byte Folded Spill
	buffer_store_dword v29, off, s[0:3], 0 offset:852 ; 4-byte Folded Spill
	buffer_store_dword v30, off, s[0:3], 0 offset:856 ; 4-byte Folded Spill
	buffer_store_dword v31, off, s[0:3], 0 offset:860 ; 4-byte Folded Spill
	;; [unrolled: 34-line block ×3, first 2 shown]
	v_cndmask_b32_e32 v15, v59, v25, vcc
	buffer_store_dword v0, off, s[0:3], 0 offset:992 ; 4-byte Folded Spill
	s_nop 0
	buffer_store_dword v1, off, s[0:3], 0 offset:996 ; 4-byte Folded Spill
	buffer_store_dword v2, off, s[0:3], 0 offset:1000 ; 4-byte Folded Spill
	;; [unrolled: 1-line block ×31, first 2 shown]
	v_cndmask_b32_e32 v14, v55, v24, vcc
	buffer_store_dword v0, off, s[0:3], 0 offset:864 ; 4-byte Folded Spill
	s_nop 0
	buffer_store_dword v1, off, s[0:3], 0 offset:868 ; 4-byte Folded Spill
	buffer_store_dword v2, off, s[0:3], 0 offset:872 ; 4-byte Folded Spill
	;; [unrolled: 1-line block ×31, first 2 shown]
	v_cndmask_b32_e64 v13, v60, v25, s[8:9]
	v_accvgpr_write_b32 a141, v13
	v_cndmask_b32_e64 v13, v61, v25, s[10:11]
	v_accvgpr_write_b32 a153, v13
	v_cndmask_b32_e64 v13, v69, v31, s[8:9]
	v_cndmask_b32_e64 v17, v67, v31, s[12:13]
	v_cndmask_b32_e32 v15, v68, v31, vcc
	v_accvgpr_write_b32 a187, v13
	v_cndmask_b32_e64 v13, v70, v31, s[10:11]
	v_cndmask_b32_e64 v146, v56, v24, s[8:9]
	;; [unrolled: 1-line block ×3, first 2 shown]
	v_accvgpr_write_b32 a75, v17
	v_cndmask_b32_e64 v16, v16, v30, s[12:13]
	v_accvgpr_write_b32 a91, v15
	v_cndmask_b32_e32 v170, v64, v30, vcc
	v_cndmask_b32_e64 v184, v65, v30, s[8:9]
	v_accvgpr_write_b32 a103, v13
	v_cndmask_b32_e64 v226, v66, v30, s[10:11]
.LBB2_61:
	s_or_b64 exec, exec, s[56:57]
	buffer_store_dword v7, off, s[0:3], 0 offset:80
	s_and_saveexec_b64 s[20:21], s[4:5]
	s_cbranch_execz .LBB2_70
; %bb.62:
	s_mov_b64 s[22:23], 0
	s_branch .LBB2_64
.LBB2_63:                               ;   in Loop: Header=BB2_64 Depth=1
	s_or_b64 exec, exec, s[10:11]
	s_waitcnt vmcnt(0)
	v_cmp_gt_i32_e32 vcc, 0, v4
	s_or_b64 s[22:23], vcc, s[22:23]
	v_mov_b32_e32 v10, v4
	s_andn2_b64 exec, exec, s[22:23]
	s_cbranch_execz .LBB2_70
.LBB2_64:                               ; =>This Inner Loop Header: Depth=1
	buffer_load_dword v42, off, s[0:3], 0 offset:992 ; 4-byte Folded Reload
	buffer_load_dword v43, off, s[0:3], 0 offset:996 ; 4-byte Folded Reload
	;; [unrolled: 1-line block ×32, first 2 shown]
	v_cmp_eq_u32_e32 vcc, 1, v10
	v_cndmask_b32_e32 v4, v251, v253, vcc
	v_cmp_eq_u32_e64 s[8:9], 2, v10
	v_cndmask_b32_e64 v4, v4, v255, s[8:9]
	v_cmp_eq_u32_e64 s[10:11], 3, v10
	v_cndmask_b32_e64 v4, v4, v41, s[10:11]
	;; [unrolled: 2-line block ×3, first 2 shown]
	v_cmp_eq_u32_e64 s[14:15], 5, v10
	v_accvgpr_read_b32 v13, a153
	v_cndmask_b32_e64 v4, v4, v13, s[14:15]
	v_cmp_eq_u32_e64 s[16:17], 6, v10
	v_accvgpr_read_b32 v13, a141
	v_cndmask_b32_e64 v4, v4, v13, s[16:17]
	v_cmp_eq_u32_e64 s[18:19], 7, v10
	v_cndmask_b32_e32 v6, v250, v252, vcc
	v_cndmask_b32_e64 v6, v6, v254, s[8:9]
	v_cndmask_b32_e64 v6, v6, v40, s[10:11]
	;; [unrolled: 1-line block ×5, first 2 shown]
	v_cmp_eq_u32_e32 vcc, 8, v10
	s_mov_b64 s[8:9], 0
	s_waitcnt vmcnt(16)
	v_cndmask_b32_e64 v4, v4, v57, s[18:19]
	buffer_load_dword v42, off, s[0:3], 0 offset:864 ; 4-byte Folded Reload
	buffer_load_dword v43, off, s[0:3], 0 offset:868 ; 4-byte Folded Reload
	;; [unrolled: 1-line block ×32, first 2 shown]
	s_waitcnt vmcnt(17)
	v_cndmask_b32_e64 v6, v6, v56, s[18:19]
	buffer_load_dword v42, off, s[0:3], 0 offset:736 ; 4-byte Folded Reload
	buffer_load_dword v43, off, s[0:3], 0 offset:740 ; 4-byte Folded Reload
	;; [unrolled: 1-line block ×32, first 2 shown]
	s_waitcnt vmcnt(14)
	v_cndmask_b32_e32 v7, v4, v59, vcc
	buffer_load_dword v42, off, s[0:3], 0 offset:480 ; 4-byte Folded Reload
	buffer_load_dword v43, off, s[0:3], 0 offset:484 ; 4-byte Folded Reload
	buffer_load_dword v44, off, s[0:3], 0 offset:488 ; 4-byte Folded Reload
	buffer_load_dword v45, off, s[0:3], 0 offset:492 ; 4-byte Folded Reload
	buffer_load_dword v46, off, s[0:3], 0 offset:496 ; 4-byte Folded Reload
	buffer_load_dword v47, off, s[0:3], 0 offset:500 ; 4-byte Folded Reload
	buffer_load_dword v48, off, s[0:3], 0 offset:504 ; 4-byte Folded Reload
	buffer_load_dword v49, off, s[0:3], 0 offset:508 ; 4-byte Folded Reload
	buffer_load_dword v50, off, s[0:3], 0 offset:512 ; 4-byte Folded Reload
	buffer_load_dword v51, off, s[0:3], 0 offset:516 ; 4-byte Folded Reload
	buffer_load_dword v52, off, s[0:3], 0 offset:520 ; 4-byte Folded Reload
	buffer_load_dword v53, off, s[0:3], 0 offset:524 ; 4-byte Folded Reload
	buffer_load_dword v54, off, s[0:3], 0 offset:528 ; 4-byte Folded Reload
	buffer_load_dword v55, off, s[0:3], 0 offset:532 ; 4-byte Folded Reload
	buffer_load_dword v56, off, s[0:3], 0 offset:536 ; 4-byte Folded Reload
	buffer_load_dword v57, off, s[0:3], 0 offset:540 ; 4-byte Folded Reload
	buffer_load_dword v58, off, s[0:3], 0 offset:544 ; 4-byte Folded Reload
	buffer_load_dword v59, off, s[0:3], 0 offset:548 ; 4-byte Folded Reload
	buffer_load_dword v60, off, s[0:3], 0 offset:552 ; 4-byte Folded Reload
	buffer_load_dword v61, off, s[0:3], 0 offset:556 ; 4-byte Folded Reload
	buffer_load_dword v62, off, s[0:3], 0 offset:560 ; 4-byte Folded Reload
	buffer_load_dword v63, off, s[0:3], 0 offset:564 ; 4-byte Folded Reload
	buffer_load_dword v64, off, s[0:3], 0 offset:568 ; 4-byte Folded Reload
	buffer_load_dword v65, off, s[0:3], 0 offset:572 ; 4-byte Folded Reload
	buffer_load_dword v66, off, s[0:3], 0 offset:576 ; 4-byte Folded Reload
	buffer_load_dword v67, off, s[0:3], 0 offset:580 ; 4-byte Folded Reload
	buffer_load_dword v68, off, s[0:3], 0 offset:584 ; 4-byte Folded Reload
	buffer_load_dword v69, off, s[0:3], 0 offset:588 ; 4-byte Folded Reload
	buffer_load_dword v70, off, s[0:3], 0 offset:592 ; 4-byte Folded Reload
	buffer_load_dword v71, off, s[0:3], 0 offset:596 ; 4-byte Folded Reload
	buffer_load_dword v72, off, s[0:3], 0 offset:600 ; 4-byte Folded Reload
	buffer_load_dword v73, off, s[0:3], 0 offset:604 ; 4-byte Folded Reload
	s_waitcnt vmcnt(15)
	v_cndmask_b32_e32 v6, v6, v58, vcc
	v_cmp_ngt_f64_e32 vcc, 0, v[6:7]
	v_lshl_add_u32 v7, v10, 2, v209
	buffer_load_dword v4, v7, s[0:3], 0 offen
                                        ; implicit-def: $vgpr6
	s_and_saveexec_b64 s[10:11], vcc
	s_xor_b64 s[10:11], exec, s[10:11]
	s_cbranch_execnz .LBB2_67
; %bb.65:                               ;   in Loop: Header=BB2_64 Depth=1
	s_andn2_saveexec_b64 s[10:11], s[10:11]
	s_cbranch_execnz .LBB2_68
.LBB2_66:                               ;   in Loop: Header=BB2_64 Depth=1
	s_or_b64 exec, exec, s[10:11]
	s_and_saveexec_b64 s[10:11], s[8:9]
	s_cbranch_execz .LBB2_63
	s_branch .LBB2_69
.LBB2_67:                               ;   in Loop: Header=BB2_64 Depth=1
	buffer_load_dword v6, off, s[0:3], 0 offset:80
                                        ; implicit-def: $vgpr7
	s_waitcnt vmcnt(0)
	v_cmp_eq_u32_e32 vcc, -1, v6
	v_mov_b32_e32 v6, 0x50
	s_and_b64 s[8:9], vcc, exec
	s_andn2_saveexec_b64 s[10:11], s[10:11]
	s_cbranch_execz .LBB2_66
.LBB2_68:                               ;   in Loop: Header=BB2_64 Depth=1
	buffer_load_dword v9, off, s[0:3], 0 offset:84
	v_mov_b32_e32 v6, 0x54
	s_or_b64 s[8:9], s[8:9], exec
	s_waitcnt vmcnt(0)
	buffer_store_dword v9, v7, s[0:3], 0 offen
	s_or_b64 exec, exec, s[10:11]
	s_and_saveexec_b64 s[10:11], s[8:9]
	s_cbranch_execz .LBB2_63
.LBB2_69:                               ;   in Loop: Header=BB2_64 Depth=1
	buffer_store_dword v10, v6, s[0:3], 0 offen
	s_branch .LBB2_63
.LBB2_70:
	s_or_b64 exec, exec, s[20:21]
	s_and_saveexec_b64 s[8:9], s[6:7]
	s_cbranch_execz .LBB2_72
; %bb.71:
	v_cmp_gt_f64_e32 vcc, 0, v[0:1]
	v_mov_b32_e32 v0, 0
	v_cmp_gt_f64_e64 s[6:7], 0, v[2:3]
	s_and_b64 s[4:5], s[4:5], vcc
	v_lshl_add_u32 v1, v8, 2, v0
	s_or_b64 s[4:5], s[6:7], s[4:5]
	v_lshl_add_u32 v3, v5, 2, v0
	v_lshl_add_u32 v0, v11, 2, v0
	v_cndmask_b32_e64 v2, v12, -1, s[4:5]
	buffer_store_dword v5, v0, s[0:3], 0 offen offset:40
	buffer_store_dword v8, v3, s[0:3], 0 offen offset:40
	;; [unrolled: 1-line block ×3, first 2 shown]
.LBB2_72:
	s_or_b64 exec, exec, s[8:9]
	buffer_load_dword v0, off, s[0:3], 0 offset:44
	buffer_load_dword v1, off, s[0:3], 0 offset:48
	;; [unrolled: 1-line block ×7, first 2 shown]
	v_accvgpr_read_b32 v11, a103
	v_accvgpr_read_b32 v13, a187
	;; [unrolled: 1-line block ×4, first 2 shown]
	v_mov_b32_e32 v10, -1
	s_waitcnt vmcnt(6)
	buffer_store_dword v0, off, s[0:3], 0 offset:4
	s_waitcnt vmcnt(2)
	buffer_store_dword v5, off, s[0:3], 0
	buffer_store_dword v2, off, s[0:3], 0 offset:12
	buffer_store_dword v1, off, s[0:3], 0 offset:8
	;; [unrolled: 1-line block ×4, first 2 shown]
	buffer_load_dword v0, off, s[0:3], 0 offset:72
	s_nop 0
	buffer_load_dword v1, off, s[0:3], 0 offset:68
	buffer_load_dword v2, off, s[0:3], 0 offset:64
	v_pk_mov_b32 v[4:5], -1, -1
	v_pk_mov_b32 v[6:7], v[4:5], v[4:5] op_sel:[0,1]
	s_waitcnt vmcnt(1)
	buffer_store_dword v1, off, s[0:3], 0 offset:28
	s_waitcnt vmcnt(1)
	buffer_store_dword v2, off, s[0:3], 0 offset:24
	buffer_store_dword v0, off, s[0:3], 0 offset:32
	buffer_load_dword v36, off, s[0:3], 0 offset:80
	s_waitcnt vmcnt(0)
	buffer_store_dword v36, off, s[0:3], 0 offset:88
	buffer_store_dword v37, off, s[0:3], 0 offset:92
	v_cmp_eq_u32_e32 vcc, 1, v36
	v_cndmask_b32_e32 v0, v249, v33, vcc
	v_cmp_eq_u32_e64 s[4:5], 2, v36
	v_cndmask_b32_e32 v1, v248, v32, vcc
	v_cndmask_b32_e64 v0, v0, v205, s[4:5]
	v_cmp_eq_u32_e64 s[6:7], 3, v36
	v_cndmask_b32_e64 v1, v1, v204, s[4:5]
	v_cndmask_b32_e64 v0, v0, v99, s[6:7]
	v_cmp_eq_u32_e32 vcc, 4, v36
	v_cndmask_b32_e64 v1, v1, v98, s[6:7]
	v_cndmask_b32_e32 v0, v0, v133, vcc
	v_cmp_eq_u32_e64 s[4:5], 5, v36
	v_cndmask_b32_e32 v1, v1, v132, vcc
	v_cndmask_b32_e64 v0, v0, v11, s[4:5]
	v_cmp_eq_u32_e32 vcc, 6, v36
	v_cndmask_b32_e64 v1, v1, v226, s[4:5]
	v_cndmask_b32_e32 v0, v0, v13, vcc
	v_cmp_eq_u32_e64 s[4:5], 7, v36
	v_cndmask_b32_e32 v1, v1, v184, vcc
	v_cndmask_b32_e64 v0, v0, v15, s[4:5]
	v_cndmask_b32_e64 v1, v1, v170, s[4:5]
	v_cmp_eq_u32_e32 vcc, 8, v36
	v_cndmask_b32_e32 v3, v0, v17, vcc
	v_cndmask_b32_e32 v2, v1, v16, vcc
	v_cmp_lt_i32_e64 s[4:5], -1, v36
	v_mov_b32_e32 v11, -1
	v_pk_mov_b32 v[0:1], 0, 0
	s_and_saveexec_b64 s[14:15], s[4:5]
	s_cbranch_execz .LBB2_76
; %bb.73:
	s_mov_b64 s[16:17], 0
	v_mov_b32_e32 v10, -1
	v_mov_b32_e32 v5, v36
	v_mov_b32_e32 v4, -1
	v_mov_b32_e32 v6, -1
	;; [unrolled: 1-line block ×3, first 2 shown]
	v_pk_mov_b32 v[8:9], v[2:3], v[2:3] op_sel:[0,1]
	v_accvgpr_read_b32 v17, a75
	v_accvgpr_read_b32 v15, a91
	;; [unrolled: 1-line block ×4, first 2 shown]
.LBB2_74:                               ; =>This Inner Loop Header: Depth=1
	v_lshl_add_u32 v0, v5, 2, v209
	buffer_load_dword v7, v0, s[0:3], 0 offen
	s_waitcnt vmcnt(0)
	v_cmp_gt_i32_e32 vcc, 0, v7
	v_cndmask_b32_e32 v14, v7, v36, vcc
	v_cmp_eq_u32_e64 s[6:7], 1, v14
	v_cndmask_b32_e64 v0, v249, v33, s[6:7]
	v_cmp_eq_u32_e64 s[8:9], 2, v14
	v_cndmask_b32_e64 v1, v248, v32, s[6:7]
	v_cndmask_b32_e64 v0, v0, v205, s[8:9]
	v_cmp_eq_u32_e64 s[10:11], 3, v14
	v_cndmask_b32_e64 v1, v1, v204, s[8:9]
	;; [unrolled: 3-line block ×6, first 2 shown]
	v_cndmask_b32_e64 v0, v0, v15, s[8:9]
	v_cndmask_b32_e64 v1, v1, v170, s[8:9]
	v_cmp_eq_u32_e64 s[6:7], 8, v14
	v_cndmask_b32_e64 v13, v0, v17, s[6:7]
	v_cndmask_b32_e64 v12, v1, v16, s[6:7]
	v_pk_mov_b32 v[0:1], v[8:9], v[8:9] op_sel:[0,1]
	v_cmp_le_f64_e64 s[6:7], 0, v[0:1]
	v_cmp_gt_f64_e64 s[8:9], 0, v[0:1]
	v_cmp_gt_f64_e64 s[10:11], 0, v[12:13]
	v_cmp_le_f64_e64 s[12:13], 0, v[12:13]
	s_and_b64 s[6:7], s[6:7], s[10:11]
	s_and_b64 s[8:9], s[8:9], s[12:13]
	v_cndmask_b32_e64 v6, v6, v14, s[6:7]
	v_cndmask_b32_e64 v11, v11, v14, s[8:9]
	;; [unrolled: 1-line block ×4, first 2 shown]
	s_or_b64 s[16:17], vcc, s[16:17]
	v_mov_b32_e32 v5, v7
	v_pk_mov_b32 v[8:9], v[12:13], v[12:13] op_sel:[0,1]
	s_andn2_b64 exec, exec, s[16:17]
	s_cbranch_execnz .LBB2_74
; %bb.75:
	s_or_b64 exec, exec, s[16:17]
.LBB2_76:
	s_or_b64 exec, exec, s[14:15]
	v_cmp_lt_i32_e64 s[6:7], -1, v10
	v_mov_b32_e32 v12, -1
	v_mov_b32_e32 v5, -1
	;; [unrolled: 1-line block ×3, first 2 shown]
	s_and_saveexec_b64 s[56:57], s[6:7]
	s_cbranch_execz .LBB2_78
; %bb.77:
	buffer_load_dword a26, off, s[0:3], 0 offset:224 ; 4-byte Folded Reload
	buffer_load_dword a27, off, s[0:3], 0 offset:228 ; 4-byte Folded Reload
	;; [unrolled: 1-line block ×32, first 2 shown]
	v_cmp_eq_u32_e64 s[8:9], 1, v6
	v_cndmask_b32_e64 v5, v249, v33, s[8:9]
	v_cmp_eq_u32_e64 s[10:11], 2, v6
	v_cndmask_b32_e64 v5, v5, v205, s[10:11]
	;; [unrolled: 2-line block ×4, first 2 shown]
	v_cmp_eq_u32_e64 s[16:17], 5, v6
	v_accvgpr_read_b32 v87, a103
	v_cndmask_b32_e64 v5, v5, v87, s[16:17]
	v_cmp_eq_u32_e64 s[18:19], 6, v6
	v_accvgpr_read_b32 v81, a187
	v_cndmask_b32_e64 v5, v5, v81, s[18:19]
	;; [unrolled: 3-line block ×3, first 2 shown]
	v_cmp_eq_u32_e64 s[22:23], 8, v6
	v_accvgpr_read_b32 v71, a75
	v_cmp_eq_u32_e64 s[24:25], 1, v10
	v_cndmask_b32_e64 v6, v248, v32, s[8:9]
	v_cndmask_b32_e64 v7, v5, v71, s[22:23]
	v_cndmask_b32_e64 v5, v249, v33, s[24:25]
	v_cmp_eq_u32_e64 s[26:27], 2, v10
	v_cndmask_b32_e64 v8, v248, v32, s[24:25]
	v_cndmask_b32_e64 v6, v6, v204, s[10:11]
	v_cndmask_b32_e64 v5, v5, v205, s[26:27]
	;; [unrolled: 4-line block ×7, first 2 shown]
	v_cndmask_b32_e64 v8, v8, v170, s[38:39]
	v_cmp_eq_u32_e64 s[42:43], 8, v10
	v_cndmask_b32_e64 v6, v6, v16, s[22:23]
	v_cndmask_b32_e64 v9, v5, v71, s[42:43]
	;; [unrolled: 1-line block ×3, first 2 shown]
	v_add_f64 v[14:15], -v[6:7], 0
	v_add_f64 v[18:19], v[8:9], -v[6:7]
	v_div_scale_f64 v[20:21], s[40:41], v[18:19], v[18:19], v[14:15]
	v_rcp_f64_e32 v[22:23], v[20:21]
	v_pk_mov_b32 v[84:85], v[26:27], v[26:27] op_sel:[0,1]
	v_accvgpr_read_b32 v59, a25
	v_accvgpr_read_b32 v57, a13
	v_fma_f64 v[24:25], -v[20:21], v[22:23], 1.0
	v_fmac_f64_e32 v[22:23], v[22:23], v[24:25]
	v_fma_f64 v[24:25], -v[20:21], v[22:23], 1.0
	v_fmac_f64_e32 v[22:23], v[22:23], v[24:25]
	v_div_scale_f64 v[24:25], vcc, v[14:15], v[18:19], v[14:15]
	v_mul_f64 v[26:27], v[24:25], v[22:23]
	v_fma_f64 v[20:21], -v[20:21], v[26:27], v[24:25]
	v_accvgpr_read_b32 v78, a254
	s_nop 0
	v_div_fmas_f64 v[20:21], v[20:21], v[22:23], v[26:27]
	v_div_fixup_f64 v[34:35], v[20:21], v[18:19], v[14:15]
	v_accvgpr_read_b32 v79, a255
	v_accvgpr_read_b32 v76, a250
	v_cndmask_b32_e64 v5, v103, v79, s[24:25]
	v_accvgpr_read_b32 v77, a251
	v_cndmask_b32_e64 v13, v102, v78, s[24:25]
	v_cndmask_b32_e64 v5, v5, v77, s[26:27]
	;; [unrolled: 1-line block ×3, first 2 shown]
	v_accvgpr_read_b32 v45, a217
	s_waitcnt vmcnt(24)
	v_accvgpr_read_b32 v24, a32
	v_accvgpr_read_b32 v25, a33
	buffer_load_dword a26, off, s[0:3], 0 offset:96 ; 4-byte Folded Reload
	buffer_load_dword a27, off, s[0:3], 0 offset:100 ; 4-byte Folded Reload
	;; [unrolled: 1-line block ×32, first 2 shown]
	v_cndmask_b32_e64 v5, v5, v25, s[28:29]
	v_cndmask_b32_e64 v13, v13, v24, s[28:29]
	v_accvgpr_read_b32 v31, a117
	v_accvgpr_read_b32 v23, a169
	;; [unrolled: 1-line block ×3, first 2 shown]
	v_add_f64 v[38:39], -v[34:35], 1.0
	v_cmp_eq_u32_e64 s[48:49], 6, v37
	v_cmp_eq_u32_e64 s[40:41], 3, v37
	;; [unrolled: 1-line block ×3, first 2 shown]
	v_cmp_eq_u32_e32 vcc, 4, v37
	v_cmp_eq_u32_e64 s[50:51], 5, v37
	v_accvgpr_read_b32 v65, a153
	v_accvgpr_read_b32 v63, a141
	v_cmp_eq_u32_e64 s[46:47], 7, v37
	v_pk_mov_b32 v[82:83], v[28:29], v[28:29] op_sel:[0,1]
	v_mul_f64 v[6:7], v[6:7], v[38:39]
	v_fmac_f64_e32 v[6:7], v[8:9], v[34:35]
	v_cndmask_b32_e64 v95, v99, v7, s[40:41]
	v_cndmask_b32_e64 v90, v98, v6, s[40:41]
	v_cndmask_b32_e32 v94, v133, v7, vcc
	v_cndmask_b32_e64 v70, v71, v7, s[44:45]
	v_cndmask_b32_e64 v71, v73, v7, s[46:47]
	;; [unrolled: 1-line block ×7, first 2 shown]
	v_cndmask_b32_e32 v89, v132, v6, vcc
	v_cndmask_b32_e64 v69, v226, v6, s[50:51]
	s_waitcnt vmcnt(22)
	v_accvgpr_read_b32 v26, a34
	v_accvgpr_read_b32 v27, a35
	buffer_load_dword a26, off, s[0:3], 0 offset:2144 ; 4-byte Folded Reload
	buffer_load_dword a27, off, s[0:3], 0 offset:2148 ; 4-byte Folded Reload
	;; [unrolled: 1-line block ×32, first 2 shown]
	v_cndmask_b32_e64 v5, v5, v27, s[30:31]
	v_cndmask_b32_e64 v13, v13, v26, s[30:31]
	;; [unrolled: 1-line block ×16, first 2 shown]
	s_waitcnt vmcnt(21)
	v_accvgpr_read_b32 v44, a36
	buffer_load_dword a26, off, s[0:3], 0 offset:2016 ; 4-byte Folded Reload
	buffer_load_dword a27, off, s[0:3], 0 offset:2020 ; 4-byte Folded Reload
	buffer_load_dword a28, off, s[0:3], 0 offset:2024 ; 4-byte Folded Reload
	buffer_load_dword a29, off, s[0:3], 0 offset:2028 ; 4-byte Folded Reload
	buffer_load_dword a30, off, s[0:3], 0 offset:2032 ; 4-byte Folded Reload
	buffer_load_dword a31, off, s[0:3], 0 offset:2036 ; 4-byte Folded Reload
	buffer_load_dword a32, off, s[0:3], 0 offset:2040 ; 4-byte Folded Reload
	buffer_load_dword a33, off, s[0:3], 0 offset:2044 ; 4-byte Folded Reload
	buffer_load_dword a34, off, s[0:3], 0 offset:2048 ; 4-byte Folded Reload
	buffer_load_dword a35, off, s[0:3], 0 offset:2052 ; 4-byte Folded Reload
	buffer_load_dword a36, off, s[0:3], 0 offset:2056 ; 4-byte Folded Reload
	buffer_load_dword a37, off, s[0:3], 0 offset:2060 ; 4-byte Folded Reload
	buffer_load_dword a38, off, s[0:3], 0 offset:2064 ; 4-byte Folded Reload
	buffer_load_dword a39, off, s[0:3], 0 offset:2068 ; 4-byte Folded Reload
	buffer_load_dword a40, off, s[0:3], 0 offset:2072 ; 4-byte Folded Reload
	buffer_load_dword a41, off, s[0:3], 0 offset:2076 ; 4-byte Folded Reload
	buffer_load_dword a42, off, s[0:3], 0 offset:2080 ; 4-byte Folded Reload
	buffer_load_dword a43, off, s[0:3], 0 offset:2084 ; 4-byte Folded Reload
	buffer_load_dword a44, off, s[0:3], 0 offset:2088 ; 4-byte Folded Reload
	buffer_load_dword a45, off, s[0:3], 0 offset:2092 ; 4-byte Folded Reload
	buffer_load_dword a46, off, s[0:3], 0 offset:2096 ; 4-byte Folded Reload
	buffer_load_dword a47, off, s[0:3], 0 offset:2100 ; 4-byte Folded Reload
	buffer_load_dword a48, off, s[0:3], 0 offset:2104 ; 4-byte Folded Reload
	buffer_load_dword a49, off, s[0:3], 0 offset:2108 ; 4-byte Folded Reload
	buffer_load_dword a50, off, s[0:3], 0 offset:2112 ; 4-byte Folded Reload
	buffer_load_dword a51, off, s[0:3], 0 offset:2116 ; 4-byte Folded Reload
	buffer_load_dword a52, off, s[0:3], 0 offset:2120 ; 4-byte Folded Reload
	buffer_load_dword a53, off, s[0:3], 0 offset:2124 ; 4-byte Folded Reload
	buffer_load_dword a54, off, s[0:3], 0 offset:2128 ; 4-byte Folded Reload
	buffer_load_dword a55, off, s[0:3], 0 offset:2132 ; 4-byte Folded Reload
	buffer_load_dword a56, off, s[0:3], 0 offset:2136 ; 4-byte Folded Reload
	buffer_load_dword a57, off, s[0:3], 0 offset:2140 ; 4-byte Folded Reload
	v_cndmask_b32_e64 v13, v13, v44, s[34:35]
	s_waitcnt vmcnt(19)
	v_accvgpr_read_b32 v30, a38
	buffer_load_dword a26, off, s[0:3], 0 offset:1888 ; 4-byte Folded Reload
	buffer_load_dword a27, off, s[0:3], 0 offset:1892 ; 4-byte Folded Reload
	buffer_load_dword a28, off, s[0:3], 0 offset:1896 ; 4-byte Folded Reload
	buffer_load_dword a29, off, s[0:3], 0 offset:1900 ; 4-byte Folded Reload
	buffer_load_dword a30, off, s[0:3], 0 offset:1904 ; 4-byte Folded Reload
	buffer_load_dword a31, off, s[0:3], 0 offset:1908 ; 4-byte Folded Reload
	buffer_load_dword a32, off, s[0:3], 0 offset:1912 ; 4-byte Folded Reload
	buffer_load_dword a33, off, s[0:3], 0 offset:1916 ; 4-byte Folded Reload
	buffer_load_dword a34, off, s[0:3], 0 offset:1920 ; 4-byte Folded Reload
	buffer_load_dword a35, off, s[0:3], 0 offset:1924 ; 4-byte Folded Reload
	buffer_load_dword a36, off, s[0:3], 0 offset:1928 ; 4-byte Folded Reload
	buffer_load_dword a37, off, s[0:3], 0 offset:1932 ; 4-byte Folded Reload
	buffer_load_dword a38, off, s[0:3], 0 offset:1936 ; 4-byte Folded Reload
	buffer_load_dword a39, off, s[0:3], 0 offset:1940 ; 4-byte Folded Reload
	buffer_load_dword a40, off, s[0:3], 0 offset:1944 ; 4-byte Folded Reload
	buffer_load_dword a41, off, s[0:3], 0 offset:1948 ; 4-byte Folded Reload
	buffer_load_dword a42, off, s[0:3], 0 offset:1952 ; 4-byte Folded Reload
	buffer_load_dword a43, off, s[0:3], 0 offset:1956 ; 4-byte Folded Reload
	buffer_load_dword a44, off, s[0:3], 0 offset:1960 ; 4-byte Folded Reload
	buffer_load_dword a45, off, s[0:3], 0 offset:1964 ; 4-byte Folded Reload
	buffer_load_dword a46, off, s[0:3], 0 offset:1968 ; 4-byte Folded Reload
	buffer_load_dword a47, off, s[0:3], 0 offset:1972 ; 4-byte Folded Reload
	buffer_load_dword a48, off, s[0:3], 0 offset:1976 ; 4-byte Folded Reload
	buffer_load_dword a49, off, s[0:3], 0 offset:1980 ; 4-byte Folded Reload
	buffer_load_dword a50, off, s[0:3], 0 offset:1984 ; 4-byte Folded Reload
	buffer_load_dword a51, off, s[0:3], 0 offset:1988 ; 4-byte Folded Reload
	buffer_load_dword a52, off, s[0:3], 0 offset:1992 ; 4-byte Folded Reload
	buffer_load_dword a53, off, s[0:3], 0 offset:1996 ; 4-byte Folded Reload
	buffer_load_dword a54, off, s[0:3], 0 offset:2000 ; 4-byte Folded Reload
	buffer_load_dword a55, off, s[0:3], 0 offset:2004 ; 4-byte Folded Reload
	buffer_load_dword a56, off, s[0:3], 0 offset:2008 ; 4-byte Folded Reload
	buffer_load_dword a57, off, s[0:3], 0 offset:2012 ; 4-byte Folded Reload
	v_cndmask_b32_e64 v13, v13, v30, s[36:37]
	;; [unrolled: 35-line block ×4, first 2 shown]
	v_cndmask_b32_e64 v13, v102, v78, s[8:9]
	v_cndmask_b32_e64 v13, v13, v76, s[10:11]
	;; [unrolled: 1-line block ×10, first 2 shown]
	v_mul_f64 v[42:43], v[18:19], v[38:39]
	v_fmac_f64_e32 v[42:43], v[14:15], v[34:35]
	v_cndmask_b32_e64 v17, v30, v42, s[48:49]
	v_accvgpr_read_b32 v30, a58
	v_cndmask_b32_e64 v53, v24, v42, s[40:41]
	v_cndmask_b32_e64 v54, v25, v43, s[40:41]
	;; [unrolled: 1-line block ×4, first 2 shown]
	v_cndmask_b32_e32 v31, v26, v42, vcc
	v_cndmask_b32_e32 v52, v27, v43, vcc
	v_cndmask_b32_e64 v18, v44, v42, s[50:51]
	v_cndmask_b32_e64 v19, v45, v43, s[50:51]
	;; [unrolled: 1-line block ×5, first 2 shown]
	s_waitcnt vmcnt(24)
	v_accvgpr_read_b32 v47, a33
	v_accvgpr_read_b32 v46, a32
	buffer_load_dword a26, off, s[0:3], 0 offset:608 ; 4-byte Folded Reload
	buffer_load_dword a27, off, s[0:3], 0 offset:612 ; 4-byte Folded Reload
	;; [unrolled: 1-line block ×64, first 2 shown]
	v_cndmask_b32_e64 v5, v5, v47, s[28:29]
	v_cndmask_b32_e64 v13, v13, v46, s[28:29]
	s_waitcnt vmcnt(54)
	v_accvgpr_read_b32 v51, a35
	s_waitcnt vmcnt(16)
	v_accvgpr_read_b32 v55, a15
	buffer_load_dword a0, off, s[0:3], 0 offset:1504 ; 4-byte Folded Reload
	buffer_load_dword a1, off, s[0:3], 0 offset:1508 ; 4-byte Folded Reload
	;; [unrolled: 1-line block ×32, first 2 shown]
	v_accvgpr_read_b32 v50, a34
	v_cndmask_b32_e64 v5, v5, v51, s[30:31]
	v_cndmask_b32_e64 v13, v13, v50, s[30:31]
	;; [unrolled: 1-line block ×5, first 2 shown]
	s_waitcnt vmcnt(21)
	v_accvgpr_read_b32 v58, a10
	buffer_load_dword a0, off, s[0:3], 0 offset:1376 ; 4-byte Folded Reload
	buffer_load_dword a1, off, s[0:3], 0 offset:1380 ; 4-byte Folded Reload
	buffer_load_dword a2, off, s[0:3], 0 offset:1384 ; 4-byte Folded Reload
	buffer_load_dword a3, off, s[0:3], 0 offset:1388 ; 4-byte Folded Reload
	buffer_load_dword a4, off, s[0:3], 0 offset:1392 ; 4-byte Folded Reload
	buffer_load_dword a5, off, s[0:3], 0 offset:1396 ; 4-byte Folded Reload
	buffer_load_dword a6, off, s[0:3], 0 offset:1400 ; 4-byte Folded Reload
	buffer_load_dword a7, off, s[0:3], 0 offset:1404 ; 4-byte Folded Reload
	buffer_load_dword a8, off, s[0:3], 0 offset:1408 ; 4-byte Folded Reload
	buffer_load_dword a9, off, s[0:3], 0 offset:1412 ; 4-byte Folded Reload
	buffer_load_dword a10, off, s[0:3], 0 offset:1416 ; 4-byte Folded Reload
	buffer_load_dword a11, off, s[0:3], 0 offset:1420 ; 4-byte Folded Reload
	buffer_load_dword a12, off, s[0:3], 0 offset:1424 ; 4-byte Folded Reload
	buffer_load_dword a13, off, s[0:3], 0 offset:1428 ; 4-byte Folded Reload
	buffer_load_dword a14, off, s[0:3], 0 offset:1432 ; 4-byte Folded Reload
	buffer_load_dword a15, off, s[0:3], 0 offset:1436 ; 4-byte Folded Reload
	buffer_load_dword a16, off, s[0:3], 0 offset:1440 ; 4-byte Folded Reload
	buffer_load_dword a17, off, s[0:3], 0 offset:1444 ; 4-byte Folded Reload
	buffer_load_dword a18, off, s[0:3], 0 offset:1448 ; 4-byte Folded Reload
	buffer_load_dword a19, off, s[0:3], 0 offset:1452 ; 4-byte Folded Reload
	buffer_load_dword a20, off, s[0:3], 0 offset:1456 ; 4-byte Folded Reload
	buffer_load_dword a21, off, s[0:3], 0 offset:1460 ; 4-byte Folded Reload
	buffer_load_dword a22, off, s[0:3], 0 offset:1464 ; 4-byte Folded Reload
	buffer_load_dword a23, off, s[0:3], 0 offset:1468 ; 4-byte Folded Reload
	buffer_load_dword a24, off, s[0:3], 0 offset:1472 ; 4-byte Folded Reload
	buffer_load_dword a25, off, s[0:3], 0 offset:1476 ; 4-byte Folded Reload
	buffer_load_dword a26, off, s[0:3], 0 offset:1480 ; 4-byte Folded Reload
	buffer_load_dword a27, off, s[0:3], 0 offset:1484 ; 4-byte Folded Reload
	buffer_load_dword a28, off, s[0:3], 0 offset:1488 ; 4-byte Folded Reload
	buffer_load_dword a29, off, s[0:3], 0 offset:1492 ; 4-byte Folded Reload
	buffer_load_dword a30, off, s[0:3], 0 offset:1496 ; 4-byte Folded Reload
	buffer_load_dword a31, off, s[0:3], 0 offset:1500 ; 4-byte Folded Reload
	v_cndmask_b32_e64 v13, v13, v58, s[34:35]
	s_waitcnt vmcnt(19)
	v_accvgpr_read_b32 v56, a12
	buffer_load_dword a0, off, s[0:3], 0 offset:1120 ; 4-byte Folded Reload
	buffer_load_dword a1, off, s[0:3], 0 offset:1124 ; 4-byte Folded Reload
	buffer_load_dword a2, off, s[0:3], 0 offset:1128 ; 4-byte Folded Reload
	buffer_load_dword a3, off, s[0:3], 0 offset:1132 ; 4-byte Folded Reload
	buffer_load_dword a4, off, s[0:3], 0 offset:1136 ; 4-byte Folded Reload
	buffer_load_dword a5, off, s[0:3], 0 offset:1140 ; 4-byte Folded Reload
	buffer_load_dword a6, off, s[0:3], 0 offset:1144 ; 4-byte Folded Reload
	buffer_load_dword a7, off, s[0:3], 0 offset:1148 ; 4-byte Folded Reload
	buffer_load_dword a8, off, s[0:3], 0 offset:1152 ; 4-byte Folded Reload
	buffer_load_dword a9, off, s[0:3], 0 offset:1156 ; 4-byte Folded Reload
	buffer_load_dword a10, off, s[0:3], 0 offset:1160 ; 4-byte Folded Reload
	buffer_load_dword a11, off, s[0:3], 0 offset:1164 ; 4-byte Folded Reload
	buffer_load_dword a12, off, s[0:3], 0 offset:1168 ; 4-byte Folded Reload
	buffer_load_dword a13, off, s[0:3], 0 offset:1172 ; 4-byte Folded Reload
	buffer_load_dword a14, off, s[0:3], 0 offset:1176 ; 4-byte Folded Reload
	buffer_load_dword a15, off, s[0:3], 0 offset:1180 ; 4-byte Folded Reload
	buffer_load_dword a16, off, s[0:3], 0 offset:1184 ; 4-byte Folded Reload
	buffer_load_dword a17, off, s[0:3], 0 offset:1188 ; 4-byte Folded Reload
	buffer_load_dword a18, off, s[0:3], 0 offset:1192 ; 4-byte Folded Reload
	buffer_load_dword a19, off, s[0:3], 0 offset:1196 ; 4-byte Folded Reload
	buffer_load_dword a20, off, s[0:3], 0 offset:1200 ; 4-byte Folded Reload
	buffer_load_dword a21, off, s[0:3], 0 offset:1204 ; 4-byte Folded Reload
	buffer_load_dword a22, off, s[0:3], 0 offset:1208 ; 4-byte Folded Reload
	buffer_load_dword a23, off, s[0:3], 0 offset:1212 ; 4-byte Folded Reload
	buffer_load_dword a24, off, s[0:3], 0 offset:1216 ; 4-byte Folded Reload
	buffer_load_dword a25, off, s[0:3], 0 offset:1220 ; 4-byte Folded Reload
	buffer_load_dword a26, off, s[0:3], 0 offset:1224 ; 4-byte Folded Reload
	buffer_load_dword a27, off, s[0:3], 0 offset:1228 ; 4-byte Folded Reload
	buffer_load_dword a28, off, s[0:3], 0 offset:1232 ; 4-byte Folded Reload
	buffer_load_dword a29, off, s[0:3], 0 offset:1236 ; 4-byte Folded Reload
	buffer_load_dword a30, off, s[0:3], 0 offset:1240 ; 4-byte Folded Reload
	buffer_load_dword a31, off, s[0:3], 0 offset:1244 ; 4-byte Folded Reload
	v_cndmask_b32_e64 v13, v13, v56, s[36:37]
	;; [unrolled: 35-line block ×3, first 2 shown]
	v_cndmask_b32_e64 v24, v13, v30, s[42:43]
	v_cndmask_b32_e64 v13, v104, v84, s[8:9]
	v_cndmask_b32_e64 v13, v13, v28, s[10:11]
	v_cndmask_b32_e64 v13, v13, v46, s[12:13]
	v_cndmask_b32_e64 v13, v13, v50, s[14:15]
	v_cndmask_b32_e64 v13, v13, v58, s[16:17]
	v_cndmask_b32_e64 v13, v13, v56, s[18:19]
	v_cndmask_b32_e64 v13, v13, v48, s[20:21]
	v_cndmask_b32_e64 v26, v13, v30, s[22:23]
	v_cndmask_b32_e64 v13, v250, v252, s[24:25]
	v_cndmask_b32_e64 v13, v13, v254, s[26:27]
	v_cndmask_b32_e64 v13, v13, v40, s[28:29]
	v_cndmask_b32_e64 v13, v13, v74, s[30:31]
	v_cndmask_b32_e64 v13, v13, v110, s[34:35]
	v_cndmask_b32_e64 v13, v13, v146, s[36:37]
	s_waitcnt vmcnt(14)
	v_accvgpr_read_b32 v49, a17
	buffer_load_dword a0, off, s[0:3], 0 offset:992 ; 4-byte Folded Reload
	buffer_load_dword a1, off, s[0:3], 0 offset:996 ; 4-byte Folded Reload
	;; [unrolled: 1-line block ×32, first 2 shown]
	v_cndmask_b32_e64 v25, v5, v49, s[42:43]
	v_cndmask_b32_e64 v5, v105, v85, s[8:9]
	;; [unrolled: 1-line block ×9, first 2 shown]
	v_mul_f64 v[44:45], v[26:27], v[38:39]
	v_fmac_f64_e32 v[44:45], v[24:25], v[34:35]
	v_cndmask_b32_e64 v27, v59, v45, s[50:51]
	v_cndmask_b32_e64 v5, v251, v253, s[24:25]
	;; [unrolled: 1-line block ×15, first 2 shown]
	v_cmp_eq_u32_e64 s[24:25], 1, v37
	v_cmp_eq_u32_e64 s[26:27], 0, v37
	v_cndmask_b32_e64 v97, v33, v7, s[24:25]
	v_cndmask_b32_e64 v100, v249, v7, s[26:27]
	v_cmp_eq_u32_e64 s[30:31], 1, v11
	v_cmp_eq_u32_e64 s[36:37], 2, v11
	v_cndmask_b32_e64 v28, v57, v45, s[48:49]
	v_cndmask_b32_e64 v92, v32, v6, s[24:25]
	v_cndmask_b32_e64 v93, v248, v6, s[26:27]
	v_cndmask_b32_e32 v50, v50, v44, vcc
	v_cndmask_b32_e32 v51, v51, v45, vcc
	v_cndmask_b32_e64 v81, v84, v44, s[24:25]
	v_cndmask_b32_e64 v84, v85, v45, s[24:25]
	;; [unrolled: 1-line block ×3, first 2 shown]
	s_waitcnt vmcnt(16)
	v_accvgpr_read_b32 v61, a15
	buffer_load_dword a0, off, s[0:3], 0 offset:864 ; 4-byte Folded Reload
	buffer_load_dword a1, off, s[0:3], 0 offset:868 ; 4-byte Folded Reload
	;; [unrolled: 1-line block ×32, first 2 shown]
	v_cndmask_b32_e64 v5, v5, v61, s[38:39]
	s_waitcnt vmcnt(17)
	v_accvgpr_read_b32 v60, a14
	buffer_load_dword a0, off, s[0:3], 0 offset:736 ; 4-byte Folded Reload
	buffer_load_dword a1, off, s[0:3], 0 offset:740 ; 4-byte Folded Reload
	;; [unrolled: 1-line block ×32, first 2 shown]
	v_cndmask_b32_e64 v13, v13, v60, s[38:39]
	v_cmp_eq_u32_e64 s[38:39], 3, v11
	s_waitcnt vmcnt(14)
	v_accvgpr_read_b32 v59, a17
	buffer_load_dword a0, off, s[0:3], 0 offset:480 ; 4-byte Folded Reload
	buffer_load_dword a1, off, s[0:3], 0 offset:484 ; 4-byte Folded Reload
	;; [unrolled: 1-line block ×32, first 2 shown]
	v_cndmask_b32_e64 v47, v5, v59, s[42:43]
	v_cndmask_b32_e64 v5, v251, v253, s[8:9]
	;; [unrolled: 1-line block ×9, first 2 shown]
	v_mov_b32_e32 v5, 0
	v_lshl_add_u32 v8, v37, 2, v5
	s_waitcnt vmcnt(15)
	v_accvgpr_read_b32 v58, a16
	v_cndmask_b32_e64 v46, v13, v58, s[42:43]
	v_cndmask_b32_e64 v13, v250, v252, s[8:9]
	;; [unrolled: 1-line block ×9, first 2 shown]
	buffer_load_dword v13, v8, s[0:3], 0 offen offset:40
	v_mul_f64 v[48:49], v[48:49], v[38:39]
	v_fmac_f64_e32 v[48:49], v[46:47], v[34:35]
	v_cndmask_b32_e64 v62, v65, v49, s[50:51]
	v_cndmask_b32_e64 v65, v40, v48, s[40:41]
	v_cmp_eq_u32_e64 s[8:9], 2, v37
	v_cndmask_b32_e64 v96, v205, v7, s[8:9]
	v_cndmask_b32_e64 v8, v100, v97, s[30:31]
	;; [unrolled: 1-line block ×5, first 2 shown]
	v_cmp_eq_u32_e64 s[40:41], 4, v11
	v_cndmask_b32_e64 v8, v8, v94, s[40:41]
	v_cmp_eq_u32_e64 s[42:43], 5, v11
	v_cndmask_b32_e64 v46, v58, v48, s[44:45]
	v_cndmask_b32_e64 v59, v59, v49, s[44:45]
	v_cndmask_b32_e64 v8, v8, v73, s[42:43]
	v_cmp_eq_u32_e64 s[44:45], 6, v11
	v_cndmask_b32_e64 v47, v60, v48, s[46:47]
	v_cndmask_b32_e64 v60, v61, v49, s[46:47]
	;; [unrolled: 4-line block ×3, first 2 shown]
	v_cndmask_b32_e32 v63, v74, v48, vcc
	v_cndmask_b32_e64 v74, v76, v42, s[8:9]
	v_cndmask_b32_e64 v77, v77, v43, s[8:9]
	;; [unrolled: 1-line block ×7, first 2 shown]
	v_cmp_eq_u32_e64 s[8:9], 1, v4
	v_cndmask_b32_e64 v8, v8, v71, s[46:47]
	v_cmp_eq_u32_e64 s[48:49], 8, v11
	v_cmp_eq_u32_e64 s[10:11], 2, v4
	;; [unrolled: 1-line block ×8, first 2 shown]
	v_cndmask_b32_e64 v4, v93, v92, s[8:9]
	v_cndmask_b32_e64 v9, v8, v70, s[48:49]
	;; [unrolled: 1-line block ×17, first 2 shown]
	v_cndmask_b32_e32 v64, v75, v49, vcc
	v_cndmask_b32_e64 v75, v78, v42, s[24:25]
	v_cndmask_b32_e64 v76, v102, v42, s[26:27]
	;; [unrolled: 1-line block ×10, first 2 shown]
	s_waitcnt vmcnt(0)
	v_lshl_add_u32 v5, v13, 2, v5
	buffer_load_dword v40, v5, s[0:3], 0 offen offset:40
	v_cndmask_b32_e64 v5, v100, v97, s[8:9]
	v_cndmask_b32_e64 v5, v5, v96, s[10:11]
	;; [unrolled: 1-line block ×8, first 2 shown]
	v_add_f64 v[6:7], -v[4:5], 0
	v_add_f64 v[32:33], v[8:9], -v[4:5]
	v_div_scale_f64 v[34:35], s[28:29], v[32:33], v[32:33], v[6:7]
	v_rcp_f64_e32 v[38:39], v[34:35]
	v_cmp_eq_u32_e64 s[24:25], 3, v13
	v_cmp_eq_u32_e64 s[26:27], 2, v13
	;; [unrolled: 1-line block ×4, first 2 shown]
	s_waitcnt vmcnt(0)
	buffer_store_dword v40, off, s[0:3], 0 offset:84
	v_fma_f64 v[40:41], -v[34:35], v[38:39], 1.0
	v_fmac_f64_e32 v[38:39], v[38:39], v[40:41]
	v_fma_f64 v[40:41], -v[34:35], v[38:39], 1.0
	v_fmac_f64_e32 v[38:39], v[38:39], v[40:41]
	v_div_scale_f64 v[40:41], vcc, v[6:7], v[32:33], v[6:7]
	v_mul_f64 v[42:43], v[40:41], v[38:39]
	v_fma_f64 v[34:35], -v[34:35], v[42:43], v[40:41]
	s_nop 1
	v_div_fmas_f64 v[34:35], v[34:35], v[38:39], v[42:43]
	v_div_fixup_f64 v[32:33], v[34:35], v[32:33], v[6:7]
	v_cndmask_b32_e64 v6, v79, v78, s[30:31]
	v_cndmask_b32_e64 v6, v6, v77, s[36:37]
	;; [unrolled: 1-line block ×32, first 2 shown]
	v_add_f64 v[38:39], -v[32:33], 1.0
	v_mul_f64 v[6:7], v[6:7], v[38:39]
	v_fmac_f64_e32 v[6:7], v[34:35], v[32:33]
	v_cmp_eq_u32_e32 vcc, 4, v13
	v_cndmask_b32_e32 v35, v52, v7, vcc
	v_cndmask_b32_e32 v34, v31, v6, vcc
	buffer_store_dword v26, off, s[0:3], 0 offset:96 ; 4-byte Folded Spill
	s_nop 0
	buffer_store_dword v27, off, s[0:3], 0 offset:100 ; 4-byte Folded Spill
	buffer_store_dword v28, off, s[0:3], 0 offset:104 ; 4-byte Folded Spill
	;; [unrolled: 1-line block ×31, first 2 shown]
	v_cndmask_b32_e64 v103, v79, v7, s[34:35]
	v_cndmask_b32_e64 v102, v76, v6, s[34:35]
	;; [unrolled: 1-line block ×4, first 2 shown]
	buffer_store_dword v28, off, s[0:3], 0 offset:224 ; 4-byte Folded Spill
	s_nop 0
	buffer_store_dword v29, off, s[0:3], 0 offset:228 ; 4-byte Folded Spill
	buffer_store_dword v30, off, s[0:3], 0 offset:232 ; 4-byte Folded Spill
	;; [unrolled: 1-line block ×31, first 2 shown]
	v_cndmask_b32_e64 v31, v85, v84, s[30:31]
	v_cndmask_b32_e64 v31, v31, v83, s[36:37]
	;; [unrolled: 1-line block ×4, first 2 shown]
	v_accvgpr_write_b32 a251, v35
	v_accvgpr_write_b32 a250, v34
	v_cndmask_b32_e64 v35, v78, v7, s[28:29]
	v_cndmask_b32_e64 v34, v75, v6, s[28:29]
	v_accvgpr_write_b32 a255, v35
	v_accvgpr_write_b32 a254, v34
	v_cndmask_b32_e64 v31, v31, v56, s[38:39]
	v_cndmask_b32_e64 v31, v31, v51, s[40:41]
	;; [unrolled: 1-line block ×36, first 2 shown]
	v_mul_f64 v[42:43], v[40:41], v[38:39]
	v_cndmask_b32_e64 v31, v31, v60, s[46:47]
	v_fmac_f64_e32 v[42:43], v[34:35], v[32:33]
	v_cndmask_b32_e64 v35, v31, v59, s[48:49]
	v_cndmask_b32_e64 v31, v48, v87, s[30:31]
	;; [unrolled: 1-line block ×25, first 2 shown]
	v_mul_f64 v[44:45], v[40:41], v[38:39]
	v_fmac_f64_e32 v[44:45], v[34:35], v[32:33]
	v_mul_f64 v[34:35], v[4:5], v[38:39]
	v_fmac_f64_e32 v[34:35], v[8:9], v[32:33]
	v_cndmask_b32_e32 v9, v51, v43, vcc
	v_cndmask_b32_e32 v8, v50, v42, vcc
	buffer_store_dword v0, off, s[0:3], 0 offset:608 ; 4-byte Folded Spill
	s_nop 0
	buffer_store_dword v1, off, s[0:3], 0 offset:612 ; 4-byte Folded Spill
	buffer_store_dword v2, off, s[0:3], 0 offset:616 ; 4-byte Folded Spill
	;; [unrolled: 1-line block ×31, first 2 shown]
	v_cndmask_b32_e64 v9, v56, v43, s[24:25]
	v_cndmask_b32_e64 v8, v55, v42, s[24:25]
	v_cndmask_b32_e32 v75, v64, v45, vcc
	v_cndmask_b32_e32 v74, v63, v44, vcc
	v_cndmask_b32_e64 v253, v98, v45, s[28:29]
	v_cndmask_b32_e32 v133, v94, v35, vcc
	v_cndmask_b32_e32 v132, v89, v34, vcc
	buffer_store_dword v2, off, s[0:3], 0 offset:352 ; 4-byte Folded Spill
	s_nop 0
	buffer_store_dword v3, off, s[0:3], 0 offset:356 ; 4-byte Folded Spill
	buffer_store_dword v4, off, s[0:3], 0 offset:360 ; 4-byte Folded Spill
	;; [unrolled: 1-line block ×31, first 2 shown]
	v_cndmask_b32_e64 v9, v83, v43, s[26:27]
	v_cndmask_b32_e64 v8, v80, v42, s[26:27]
	;; [unrolled: 1-line block ×10, first 2 shown]
	v_mov_b32_e32 v5, v37
	v_cndmask_b32_e64 v39, v84, v43, s[28:29]
	v_cndmask_b32_e64 v38, v81, v42, s[28:29]
	;; [unrolled: 1-line block ×11, first 2 shown]
	v_cmp_eq_u32_e64 s[12:13], 8, v13
	v_cndmask_b32_e64 v31, v22, v7, s[12:13]
	v_cndmask_b32_e64 v22, v14, v6, s[12:13]
	v_cmp_eq_u32_e32 vcc, 7, v13
	v_cmp_eq_u32_e64 s[8:9], 6, v13
	v_cmp_eq_u32_e64 s[10:11], 5, v13
	v_accvgpr_write_b32 a205, v31
	buffer_store_dword v6, off, s[0:3], 0 offset:1760 ; 4-byte Folded Spill
	s_nop 0
	buffer_store_dword v7, off, s[0:3], 0 offset:1764 ; 4-byte Folded Spill
	buffer_store_dword v8, off, s[0:3], 0 offset:1768 ; 4-byte Folded Spill
	;; [unrolled: 1-line block ×31, first 2 shown]
	v_cndmask_b32_e64 v146, v57, v44, s[8:9]
	v_cndmask_b32_e64 v110, v58, v44, s[10:11]
	v_cndmask_b32_e32 v21, v21, v7, vcc
	v_cndmask_b32_e32 v14, v15, v6, vcc
	v_accvgpr_write_b32 a169, v21
	buffer_store_dword v0, off, s[0:3], 0 offset:1888 ; 4-byte Folded Spill
	s_nop 0
	buffer_store_dword v1, off, s[0:3], 0 offset:1892 ; 4-byte Folded Spill
	buffer_store_dword v2, off, s[0:3], 0 offset:1896 ; 4-byte Folded Spill
	;; [unrolled: 1-line block ×31, first 2 shown]
	v_cndmask_b32_e64 v15, v20, v7, s[8:9]
	v_cndmask_b32_e64 v14, v17, v6, s[8:9]
	v_accvgpr_write_b32 a117, v15
	buffer_store_dword v2, off, s[0:3], 0 offset:2016 ; 4-byte Folded Spill
	s_nop 0
	buffer_store_dword v3, off, s[0:3], 0 offset:2020 ; 4-byte Folded Spill
	buffer_store_dword v4, off, s[0:3], 0 offset:2024 ; 4-byte Folded Spill
	;; [unrolled: 1-line block ×31, first 2 shown]
	v_cndmask_b32_e64 v15, v19, v7, s[10:11]
	v_cndmask_b32_e64 v14, v18, v6, s[10:11]
	v_accvgpr_write_b32 a217, v15
	buffer_store_dword v4, off, s[0:3], 0 offset:2144 ; 4-byte Folded Spill
	s_nop 0
	buffer_store_dword v5, off, s[0:3], 0 offset:2148 ; 4-byte Folded Spill
	buffer_store_dword v6, off, s[0:3], 0 offset:2152 ; 4-byte Folded Spill
	;; [unrolled: 1-line block ×31, first 2 shown]
	v_cndmask_b32_e64 v17, v30, v43, s[12:13]
	buffer_store_dword v0, off, s[0:3], 0 offset:1248 ; 4-byte Folded Spill
	s_nop 0
	buffer_store_dword v1, off, s[0:3], 0 offset:1252 ; 4-byte Folded Spill
	buffer_store_dword v2, off, s[0:3], 0 offset:1256 ; 4-byte Folded Spill
	;; [unrolled: 1-line block ×31, first 2 shown]
	v_cndmask_b32_e64 v18, v26, v42, s[12:13]
	v_cndmask_b32_e32 v15, v29, v43, vcc
	v_accvgpr_write_b32 a58, v18
	buffer_store_dword v0, off, s[0:3], 0 offset:1632 ; 4-byte Folded Spill
	s_nop 0
	buffer_store_dword v1, off, s[0:3], 0 offset:1636 ; 4-byte Folded Spill
	buffer_store_dword v2, off, s[0:3], 0 offset:1640 ; 4-byte Folded Spill
	;; [unrolled: 1-line block ×31, first 2 shown]
	v_cndmask_b32_e32 v14, v25, v42, vcc
	buffer_store_dword v0, off, s[0:3], 0 offset:1120 ; 4-byte Folded Spill
	s_nop 0
	buffer_store_dword v1, off, s[0:3], 0 offset:1124 ; 4-byte Folded Spill
	buffer_store_dword v2, off, s[0:3], 0 offset:1128 ; 4-byte Folded Spill
	;; [unrolled: 1-line block ×31, first 2 shown]
	v_cndmask_b32_e64 v15, v28, v43, s[8:9]
	v_pk_mov_b32 v[28:29], v[8:9], v[8:9] op_sel:[0,1]
	v_cndmask_b32_e64 v14, v24, v42, s[8:9]
	v_accvgpr_write_b32 a13, v15
	buffer_store_dword v2, off, s[0:3], 0 offset:1376 ; 4-byte Folded Spill
	s_nop 0
	buffer_store_dword v3, off, s[0:3], 0 offset:1380 ; 4-byte Folded Spill
	buffer_store_dword v4, off, s[0:3], 0 offset:1384 ; 4-byte Folded Spill
	;; [unrolled: 1-line block ×31, first 2 shown]
	v_cndmask_b32_e64 v15, v27, v43, s[10:11]
	v_pk_mov_b32 v[26:27], v[38:39], v[38:39] op_sel:[0,1]
	v_cndmask_b32_e64 v14, v23, v42, s[10:11]
	v_accvgpr_write_b32 a25, v15
	buffer_store_dword v4, off, s[0:3], 0 offset:1504 ; 4-byte Folded Spill
	s_nop 0
	buffer_store_dword v5, off, s[0:3], 0 offset:1508 ; 4-byte Folded Spill
	buffer_store_dword v6, off, s[0:3], 0 offset:1512 ; 4-byte Folded Spill
	;; [unrolled: 1-line block ×31, first 2 shown]
	v_cndmask_b32_e64 v17, v59, v45, s[12:13]
	buffer_store_dword v0, off, s[0:3], 0 offset:736 ; 4-byte Folded Spill
	s_nop 0
	buffer_store_dword v1, off, s[0:3], 0 offset:740 ; 4-byte Folded Spill
	buffer_store_dword v2, off, s[0:3], 0 offset:744 ; 4-byte Folded Spill
	buffer_store_dword v3, off, s[0:3], 0 offset:748 ; 4-byte Folded Spill
	buffer_store_dword v4, off, s[0:3], 0 offset:752 ; 4-byte Folded Spill
	buffer_store_dword v5, off, s[0:3], 0 offset:756 ; 4-byte Folded Spill
	buffer_store_dword v6, off, s[0:3], 0 offset:760 ; 4-byte Folded Spill
	buffer_store_dword v7, off, s[0:3], 0 offset:764 ; 4-byte Folded Spill
	buffer_store_dword v8, off, s[0:3], 0 offset:768 ; 4-byte Folded Spill
	buffer_store_dword v9, off, s[0:3], 0 offset:772 ; 4-byte Folded Spill
	buffer_store_dword v10, off, s[0:3], 0 offset:776 ; 4-byte Folded Spill
	buffer_store_dword v11, off, s[0:3], 0 offset:780 ; 4-byte Folded Spill
	buffer_store_dword v12, off, s[0:3], 0 offset:784 ; 4-byte Folded Spill
	buffer_store_dword v13, off, s[0:3], 0 offset:788 ; 4-byte Folded Spill
	buffer_store_dword v14, off, s[0:3], 0 offset:792 ; 4-byte Folded Spill
	buffer_store_dword v15, off, s[0:3], 0 offset:796 ; 4-byte Folded Spill
	buffer_store_dword v16, off, s[0:3], 0 offset:800 ; 4-byte Folded Spill
	buffer_store_dword v17, off, s[0:3], 0 offset:804 ; 4-byte Folded Spill
	buffer_store_dword v18, off, s[0:3], 0 offset:808 ; 4-byte Folded Spill
	buffer_store_dword v19, off, s[0:3], 0 offset:812 ; 4-byte Folded Spill
	buffer_store_dword v20, off, s[0:3], 0 offset:816 ; 4-byte Folded Spill
	buffer_store_dword v21, off, s[0:3], 0 offset:820 ; 4-byte Folded Spill
	buffer_store_dword v22, off, s[0:3], 0 offset:824 ; 4-byte Folded Spill
	buffer_store_dword v23, off, s[0:3], 0 offset:828 ; 4-byte Folded Spill
	buffer_store_dword v24, off, s[0:3], 0 offset:832 ; 4-byte Folded Spill
	buffer_store_dword v25, off, s[0:3], 0 offset:836 ; 4-byte Folded Spill
	buffer_store_dword v26, off, s[0:3], 0 offset:840 ; 4-byte Folded Spill
	buffer_store_dword v27, off, s[0:3], 0 offset:844 ; 4-byte Folded Spill
	buffer_store_dword v28, off, s[0:3], 0 offset:848 ; 4-byte Folded Spill
	buffer_store_dword v29, off, s[0:3], 0 offset:852 ; 4-byte Folded Spill
	buffer_store_dword v30, off, s[0:3], 0 offset:856 ; 4-byte Folded Spill
	buffer_store_dword v31, off, s[0:3], 0 offset:860 ; 4-byte Folded Spill
	v_cndmask_b32_e64 v18, v46, v44, s[12:13]
	buffer_store_dword v2, off, s[0:3], 0 offset:480 ; 4-byte Folded Spill
	s_nop 0
	buffer_store_dword v3, off, s[0:3], 0 offset:484 ; 4-byte Folded Spill
	buffer_store_dword v4, off, s[0:3], 0 offset:488 ; 4-byte Folded Spill
	;; [unrolled: 1-line block ×31, first 2 shown]
	v_cndmask_b32_e32 v15, v60, v45, vcc
	buffer_store_dword v0, off, s[0:3], 0 offset:992 ; 4-byte Folded Spill
	s_nop 0
	buffer_store_dword v1, off, s[0:3], 0 offset:996 ; 4-byte Folded Spill
	buffer_store_dword v2, off, s[0:3], 0 offset:1000 ; 4-byte Folded Spill
	;; [unrolled: 1-line block ×31, first 2 shown]
	v_cndmask_b32_e32 v14, v47, v44, vcc
	buffer_store_dword v0, off, s[0:3], 0 offset:864 ; 4-byte Folded Spill
	s_nop 0
	buffer_store_dword v1, off, s[0:3], 0 offset:868 ; 4-byte Folded Spill
	buffer_store_dword v2, off, s[0:3], 0 offset:872 ; 4-byte Folded Spill
	buffer_store_dword v3, off, s[0:3], 0 offset:876 ; 4-byte Folded Spill
	buffer_store_dword v4, off, s[0:3], 0 offset:880 ; 4-byte Folded Spill
	buffer_store_dword v5, off, s[0:3], 0 offset:884 ; 4-byte Folded Spill
	buffer_store_dword v6, off, s[0:3], 0 offset:888 ; 4-byte Folded Spill
	buffer_store_dword v7, off, s[0:3], 0 offset:892 ; 4-byte Folded Spill
	buffer_store_dword v8, off, s[0:3], 0 offset:896 ; 4-byte Folded Spill
	buffer_store_dword v9, off, s[0:3], 0 offset:900 ; 4-byte Folded Spill
	buffer_store_dword v10, off, s[0:3], 0 offset:904 ; 4-byte Folded Spill
	buffer_store_dword v11, off, s[0:3], 0 offset:908 ; 4-byte Folded Spill
	buffer_store_dword v12, off, s[0:3], 0 offset:912 ; 4-byte Folded Spill
	buffer_store_dword v13, off, s[0:3], 0 offset:916 ; 4-byte Folded Spill
	buffer_store_dword v14, off, s[0:3], 0 offset:920 ; 4-byte Folded Spill
	buffer_store_dword v15, off, s[0:3], 0 offset:924 ; 4-byte Folded Spill
	buffer_store_dword v16, off, s[0:3], 0 offset:928 ; 4-byte Folded Spill
	buffer_store_dword v17, off, s[0:3], 0 offset:932 ; 4-byte Folded Spill
	buffer_store_dword v18, off, s[0:3], 0 offset:936 ; 4-byte Folded Spill
	buffer_store_dword v19, off, s[0:3], 0 offset:940 ; 4-byte Folded Spill
	buffer_store_dword v20, off, s[0:3], 0 offset:944 ; 4-byte Folded Spill
	buffer_store_dword v21, off, s[0:3], 0 offset:948 ; 4-byte Folded Spill
	buffer_store_dword v22, off, s[0:3], 0 offset:952 ; 4-byte Folded Spill
	buffer_store_dword v23, off, s[0:3], 0 offset:956 ; 4-byte Folded Spill
	buffer_store_dword v24, off, s[0:3], 0 offset:960 ; 4-byte Folded Spill
	buffer_store_dword v25, off, s[0:3], 0 offset:964 ; 4-byte Folded Spill
	buffer_store_dword v26, off, s[0:3], 0 offset:968 ; 4-byte Folded Spill
	buffer_store_dword v27, off, s[0:3], 0 offset:972 ; 4-byte Folded Spill
	buffer_store_dword v28, off, s[0:3], 0 offset:976 ; 4-byte Folded Spill
	buffer_store_dword v29, off, s[0:3], 0 offset:980 ; 4-byte Folded Spill
	buffer_store_dword v30, off, s[0:3], 0 offset:984 ; 4-byte Folded Spill
	buffer_store_dword v31, off, s[0:3], 0 offset:988 ; 4-byte Folded Spill
	v_cndmask_b32_e64 v15, v61, v45, s[8:9]
	v_accvgpr_write_b32 a141, v15
	v_cndmask_b32_e64 v15, v62, v45, s[10:11]
	v_accvgpr_write_b32 a153, v15
	v_cndmask_b32_e32 v15, v71, v35, vcc
	v_accvgpr_write_b32 a91, v15
	v_cndmask_b32_e64 v15, v72, v35, s[8:9]
	v_cndmask_b32_e64 v17, v70, v35, s[12:13]
	v_accvgpr_write_b32 a187, v15
	v_cndmask_b32_e64 v15, v73, v35, s[10:11]
	v_accvgpr_write_b32 a75, v17
	v_cndmask_b32_e32 v170, v67, v34, vcc
	v_cndmask_b32_e64 v184, v68, v34, s[8:9]
	v_accvgpr_write_b32 a103, v15
	v_cndmask_b32_e64 v226, v69, v34, s[10:11]
	v_cndmask_b32_e64 v16, v16, v34, s[12:13]
.LBB2_78:
	s_or_b64 exec, exec, s[56:57]
	s_mov_b64 s[8:9], 0
	buffer_store_dword v12, off, s[0:3], 0 offset:80
	s_mov_b64 s[22:23], exec
	s_and_b64 s[10:11], s[22:23], s[4:5]
	v_pk_mov_b32 v[24:25], v[104:105], v[104:105] op_sel:[0,1]
	s_mov_b64 exec, s[10:11]
	s_cbranch_execz .LBB2_88
; %bb.79:
	s_mov_b64 s[24:25], 0
	v_cmp_gt_f64_e32 vcc, 0, v[2:3]
	v_mov_b32_e32 v2, v36
	s_branch .LBB2_81
.LBB2_80:                               ;   in Loop: Header=BB2_81 Depth=1
	s_or_b64 exec, exec, s[8:9]
	s_waitcnt vmcnt(0)
	v_cmp_gt_i32_e64 s[8:9], 0, v3
	s_or_b64 s[24:25], s[8:9], s[24:25]
	v_mov_b32_e32 v2, v3
	s_andn2_b64 exec, exec, s[24:25]
	s_cbranch_execz .LBB2_87
.LBB2_81:                               ; =>This Inner Loop Header: Depth=1
	v_cmp_eq_u32_e64 s[8:9], 1, v2
	v_cndmask_b32_e64 v3, v249, v33, s[8:9]
	v_cmp_eq_u32_e64 s[10:11], 2, v2
	v_cndmask_b32_e64 v4, v248, v32, s[8:9]
	v_cndmask_b32_e64 v3, v3, v205, s[10:11]
	v_cmp_eq_u32_e64 s[12:13], 3, v2
	v_cndmask_b32_e64 v4, v4, v204, s[10:11]
	;; [unrolled: 3-line block ×3, first 2 shown]
	v_cndmask_b32_e64 v3, v3, v133, s[14:15]
	v_cmp_eq_u32_e64 s[16:17], 5, v2
	v_accvgpr_read_b32 v15, a103
	v_cndmask_b32_e64 v4, v4, v132, s[14:15]
	v_cndmask_b32_e64 v3, v3, v15, s[16:17]
	v_cmp_eq_u32_e64 s[18:19], 6, v2
	v_accvgpr_read_b32 v15, a187
	v_cndmask_b32_e64 v4, v4, v226, s[16:17]
	;; [unrolled: 4-line block ×3, first 2 shown]
	v_cndmask_b32_e64 v3, v3, v15, s[20:21]
	v_cndmask_b32_e64 v4, v4, v170, s[20:21]
	v_cmp_eq_u32_e64 s[8:9], 8, v2
	v_accvgpr_read_b32 v17, a75
	v_cndmask_b32_e64 v7, v3, v17, s[8:9]
	v_cndmask_b32_e64 v6, v4, v16, s[8:9]
	v_cmp_ngt_f64_e64 s[8:9], 0, v[6:7]
	v_lshl_add_u32 v6, v2, 2, v209
	buffer_load_dword v3, v6, s[0:3], 0 offen
	s_mov_b64 s[10:11], 0
                                        ; implicit-def: $vgpr4
	s_and_saveexec_b64 s[12:13], s[8:9]
	s_xor_b64 s[12:13], exec, s[12:13]
	s_cbranch_execnz .LBB2_84
; %bb.82:                               ;   in Loop: Header=BB2_81 Depth=1
	s_andn2_saveexec_b64 s[8:9], s[12:13]
	s_cbranch_execnz .LBB2_85
.LBB2_83:                               ;   in Loop: Header=BB2_81 Depth=1
	s_or_b64 exec, exec, s[8:9]
	s_and_saveexec_b64 s[8:9], s[10:11]
	s_cbranch_execz .LBB2_80
	s_branch .LBB2_86
.LBB2_84:                               ;   in Loop: Header=BB2_81 Depth=1
	buffer_load_dword v4, off, s[0:3], 0 offset:80
                                        ; implicit-def: $vgpr6
	s_waitcnt vmcnt(0)
	v_cmp_eq_u32_e64 s[8:9], -1, v4
	v_mov_b32_e32 v4, 0x50
	s_and_b64 s[10:11], s[8:9], exec
	s_andn2_saveexec_b64 s[8:9], s[12:13]
	s_cbranch_execz .LBB2_83
.LBB2_85:                               ;   in Loop: Header=BB2_81 Depth=1
	buffer_load_dword v7, off, s[0:3], 0 offset:84
	v_mov_b32_e32 v4, 0x54
	s_or_b64 s[10:11], s[10:11], exec
	s_waitcnt vmcnt(0)
	buffer_store_dword v7, v6, s[0:3], 0 offen
	s_or_b64 exec, exec, s[8:9]
	s_and_saveexec_b64 s[8:9], s[10:11]
	s_cbranch_execz .LBB2_80
.LBB2_86:                               ;   in Loop: Header=BB2_81 Depth=1
	buffer_store_dword v2, v4, s[0:3], 0 offen
	s_branch .LBB2_80
.LBB2_87:
	s_or_b64 exec, exec, s[24:25]
	s_and_b64 s[8:9], vcc, exec
.LBB2_88:
	s_or_b64 exec, exec, s[22:23]
	s_and_saveexec_b64 s[10:11], s[6:7]
	s_cbranch_execz .LBB2_90
; %bb.89:
	v_mov_b32_e32 v2, 0
	v_cmp_gt_f64_e32 vcc, 0, v[0:1]
	v_lshl_add_u32 v3, v13, 2, v2
	s_or_b64 s[6:7], vcc, s[8:9]
	v_lshl_add_u32 v1, v5, 2, v2
	v_lshl_add_u32 v2, v10, 2, v2
	v_cndmask_b32_e64 v0, v11, -1, s[6:7]
	buffer_store_dword v5, v2, s[0:3], 0 offen offset:40
	buffer_store_dword v13, v1, s[0:3], 0 offen offset:40
	buffer_store_dword v0, v3, s[0:3], 0 offen offset:40
.LBB2_90:
	s_or_b64 exec, exec, s[10:11]
	buffer_load_dword v10, off, s[0:3], 0 offset:80
	v_pk_mov_b32 v[8:9], 0, 0
	v_pk_mov_b32 v[6:7], v[8:9], v[8:9] op_sel:[0,1]
	v_pk_mov_b32 v[0:1], v[8:9], v[8:9] op_sel:[0,1]
	;; [unrolled: 1-line block ×4, first 2 shown]
	s_waitcnt vmcnt(0)
	v_cmp_lt_i32_e32 vcc, -1, v10
	s_and_saveexec_b64 s[20:21], vcc
	s_cbranch_execz .LBB2_96
; %bb.91:
	v_mov_b32_e32 v0, 0
	v_lshl_add_u32 v1, v10, 2, v0
	buffer_load_dword v18, v1, s[0:3], 0 offen offset:40
	v_pk_mov_b32 v[4:5], 0, 0
	v_pk_mov_b32 v[2:3], v[4:5], v[4:5] op_sel:[0,1]
	v_pk_mov_b32 v[6:7], v[4:5], v[4:5] op_sel:[0,1]
	s_waitcnt vmcnt(0)
	v_lshl_add_u32 v0, v18, 2, v0
	buffer_load_dword v17, v0, s[0:3], 0 offen offset:40
	v_pk_mov_b32 v[0:1], v[4:5], v[4:5] op_sel:[0,1]
	s_waitcnt vmcnt(0)
	v_cmp_lt_i32_e32 vcc, -1, v17
	s_and_saveexec_b64 s[22:23], vcc
	s_cbranch_execz .LBB2_95
; %bb.92:
	buffer_load_dword a26, off, s[0:3], 0 offset:224 ; 4-byte Folded Reload
	buffer_load_dword a27, off, s[0:3], 0 offset:228 ; 4-byte Folded Reload
	;; [unrolled: 1-line block ×32, first 2 shown]
	v_accvgpr_read_b32 v58, a254
	v_cmp_eq_u32_e32 vcc, 1, v10
	v_accvgpr_read_b32 v59, a255
	v_accvgpr_read_b32 v56, a250
	v_cndmask_b32_e32 v0, v103, v59, vcc
	v_cmp_eq_u32_e64 s[6:7], 2, v10
	v_accvgpr_read_b32 v57, a251
	v_cndmask_b32_e32 v1, v102, v58, vcc
	v_cndmask_b32_e64 v0, v0, v57, s[6:7]
	v_cmp_eq_u32_e64 s[8:9], 3, v10
	v_cndmask_b32_e64 v1, v1, v56, s[6:7]
	v_cmp_eq_u32_e64 s[10:11], 4, v10
	v_cmp_eq_u32_e64 s[12:13], 5, v10
	v_accvgpr_read_b32 v97, a217
	v_cmp_eq_u32_e64 s[14:15], 6, v10
	v_accvgpr_read_b32 v95, a117
	;; [unrolled: 2-line block ×4, first 2 shown]
	v_accvgpr_read_b32 v89, a25
	v_accvgpr_read_b32 v87, a13
	;; [unrolled: 1-line block ×5, first 2 shown]
	v_pk_mov_b32 v[62:63], v[26:27], v[26:27] op_sel:[0,1]
	v_pk_mov_b32 v[6:7], 0, 0
	v_pk_mov_b32 v[60:61], v[28:29], v[28:29] op_sel:[0,1]
	s_mov_b64 s[24:25], 0
	v_pk_mov_b32 v[64:65], v[24:25], v[24:25] op_sel:[0,1]
	v_pk_mov_b32 v[2:3], v[6:7], v[6:7] op_sel:[0,1]
	;; [unrolled: 1-line block ×3, first 2 shown]
	s_waitcnt vmcnt(24)
	v_accvgpr_read_b32 v67, a33
	v_accvgpr_read_b32 v66, a32
	buffer_load_dword a26, off, s[0:3], 0 offset:96 ; 4-byte Folded Reload
	buffer_load_dword a27, off, s[0:3], 0 offset:100 ; 4-byte Folded Reload
	;; [unrolled: 1-line block ×32, first 2 shown]
	v_cndmask_b32_e64 v0, v0, v67, s[8:9]
	v_cndmask_b32_e64 v1, v1, v66, s[8:9]
	s_waitcnt vmcnt(22)
	v_accvgpr_read_b32 v69, a35
	v_accvgpr_read_b32 v68, a34
	buffer_load_dword a26, off, s[0:3], 0 offset:2144 ; 4-byte Folded Reload
	buffer_load_dword a27, off, s[0:3], 0 offset:2148 ; 4-byte Folded Reload
	buffer_load_dword a28, off, s[0:3], 0 offset:2152 ; 4-byte Folded Reload
	buffer_load_dword a29, off, s[0:3], 0 offset:2156 ; 4-byte Folded Reload
	buffer_load_dword a30, off, s[0:3], 0 offset:2160 ; 4-byte Folded Reload
	buffer_load_dword a31, off, s[0:3], 0 offset:2164 ; 4-byte Folded Reload
	buffer_load_dword a32, off, s[0:3], 0 offset:2168 ; 4-byte Folded Reload
	buffer_load_dword a33, off, s[0:3], 0 offset:2172 ; 4-byte Folded Reload
	buffer_load_dword a34, off, s[0:3], 0 offset:2176 ; 4-byte Folded Reload
	buffer_load_dword a35, off, s[0:3], 0 offset:2180 ; 4-byte Folded Reload
	buffer_load_dword a36, off, s[0:3], 0 offset:2184 ; 4-byte Folded Reload
	buffer_load_dword a37, off, s[0:3], 0 offset:2188 ; 4-byte Folded Reload
	buffer_load_dword a38, off, s[0:3], 0 offset:2192 ; 4-byte Folded Reload
	buffer_load_dword a39, off, s[0:3], 0 offset:2196 ; 4-byte Folded Reload
	buffer_load_dword a40, off, s[0:3], 0 offset:2200 ; 4-byte Folded Reload
	buffer_load_dword a41, off, s[0:3], 0 offset:2204 ; 4-byte Folded Reload
	buffer_load_dword a42, off, s[0:3], 0 offset:2208 ; 4-byte Folded Reload
	buffer_load_dword a43, off, s[0:3], 0 offset:2212 ; 4-byte Folded Reload
	buffer_load_dword a44, off, s[0:3], 0 offset:2216 ; 4-byte Folded Reload
	buffer_load_dword a45, off, s[0:3], 0 offset:2220 ; 4-byte Folded Reload
	buffer_load_dword a46, off, s[0:3], 0 offset:2224 ; 4-byte Folded Reload
	buffer_load_dword a47, off, s[0:3], 0 offset:2228 ; 4-byte Folded Reload
	buffer_load_dword a48, off, s[0:3], 0 offset:2232 ; 4-byte Folded Reload
	buffer_load_dword a49, off, s[0:3], 0 offset:2236 ; 4-byte Folded Reload
	buffer_load_dword a50, off, s[0:3], 0 offset:2240 ; 4-byte Folded Reload
	buffer_load_dword a51, off, s[0:3], 0 offset:2244 ; 4-byte Folded Reload
	buffer_load_dword a52, off, s[0:3], 0 offset:2248 ; 4-byte Folded Reload
	buffer_load_dword a53, off, s[0:3], 0 offset:2252 ; 4-byte Folded Reload
	buffer_load_dword a54, off, s[0:3], 0 offset:2256 ; 4-byte Folded Reload
	buffer_load_dword a55, off, s[0:3], 0 offset:2260 ; 4-byte Folded Reload
	buffer_load_dword a56, off, s[0:3], 0 offset:2264 ; 4-byte Folded Reload
	buffer_load_dword a57, off, s[0:3], 0 offset:2268 ; 4-byte Folded Reload
	v_cndmask_b32_e64 v0, v0, v69, s[10:11]
	v_cndmask_b32_e64 v1, v1, v68, s[10:11]
	;; [unrolled: 1-line block ×6, first 2 shown]
	v_cndmask_b32_e32 v0, v25, v27, vcc
	v_cndmask_b32_e64 v0, v0, v29, s[6:7]
	s_waitcnt vmcnt(21)
	v_accvgpr_read_b32 v92, a36
	buffer_load_dword a26, off, s[0:3], 0 offset:2016 ; 4-byte Folded Reload
	buffer_load_dword a27, off, s[0:3], 0 offset:2020 ; 4-byte Folded Reload
	buffer_load_dword a28, off, s[0:3], 0 offset:2024 ; 4-byte Folded Reload
	buffer_load_dword a29, off, s[0:3], 0 offset:2028 ; 4-byte Folded Reload
	buffer_load_dword a30, off, s[0:3], 0 offset:2032 ; 4-byte Folded Reload
	buffer_load_dword a31, off, s[0:3], 0 offset:2036 ; 4-byte Folded Reload
	buffer_load_dword a32, off, s[0:3], 0 offset:2040 ; 4-byte Folded Reload
	buffer_load_dword a33, off, s[0:3], 0 offset:2044 ; 4-byte Folded Reload
	buffer_load_dword a34, off, s[0:3], 0 offset:2048 ; 4-byte Folded Reload
	buffer_load_dword a35, off, s[0:3], 0 offset:2052 ; 4-byte Folded Reload
	buffer_load_dword a36, off, s[0:3], 0 offset:2056 ; 4-byte Folded Reload
	buffer_load_dword a37, off, s[0:3], 0 offset:2060 ; 4-byte Folded Reload
	buffer_load_dword a38, off, s[0:3], 0 offset:2064 ; 4-byte Folded Reload
	buffer_load_dword a39, off, s[0:3], 0 offset:2068 ; 4-byte Folded Reload
	buffer_load_dword a40, off, s[0:3], 0 offset:2072 ; 4-byte Folded Reload
	buffer_load_dword a41, off, s[0:3], 0 offset:2076 ; 4-byte Folded Reload
	buffer_load_dword a42, off, s[0:3], 0 offset:2080 ; 4-byte Folded Reload
	buffer_load_dword a43, off, s[0:3], 0 offset:2084 ; 4-byte Folded Reload
	buffer_load_dword a44, off, s[0:3], 0 offset:2088 ; 4-byte Folded Reload
	buffer_load_dword a45, off, s[0:3], 0 offset:2092 ; 4-byte Folded Reload
	buffer_load_dword a46, off, s[0:3], 0 offset:2096 ; 4-byte Folded Reload
	buffer_load_dword a47, off, s[0:3], 0 offset:2100 ; 4-byte Folded Reload
	buffer_load_dword a48, off, s[0:3], 0 offset:2104 ; 4-byte Folded Reload
	buffer_load_dword a49, off, s[0:3], 0 offset:2108 ; 4-byte Folded Reload
	buffer_load_dword a50, off, s[0:3], 0 offset:2112 ; 4-byte Folded Reload
	buffer_load_dword a51, off, s[0:3], 0 offset:2116 ; 4-byte Folded Reload
	buffer_load_dword a52, off, s[0:3], 0 offset:2120 ; 4-byte Folded Reload
	buffer_load_dword a53, off, s[0:3], 0 offset:2124 ; 4-byte Folded Reload
	buffer_load_dword a54, off, s[0:3], 0 offset:2128 ; 4-byte Folded Reload
	buffer_load_dword a55, off, s[0:3], 0 offset:2132 ; 4-byte Folded Reload
	buffer_load_dword a56, off, s[0:3], 0 offset:2136 ; 4-byte Folded Reload
	buffer_load_dword a57, off, s[0:3], 0 offset:2140 ; 4-byte Folded Reload
	v_cndmask_b32_e64 v1, v1, v92, s[12:13]
	s_waitcnt vmcnt(19)
	v_accvgpr_read_b32 v90, a38
	buffer_load_dword a26, off, s[0:3], 0 offset:1888 ; 4-byte Folded Reload
	buffer_load_dword a27, off, s[0:3], 0 offset:1892 ; 4-byte Folded Reload
	buffer_load_dword a28, off, s[0:3], 0 offset:1896 ; 4-byte Folded Reload
	buffer_load_dword a29, off, s[0:3], 0 offset:1900 ; 4-byte Folded Reload
	buffer_load_dword a30, off, s[0:3], 0 offset:1904 ; 4-byte Folded Reload
	buffer_load_dword a31, off, s[0:3], 0 offset:1908 ; 4-byte Folded Reload
	buffer_load_dword a32, off, s[0:3], 0 offset:1912 ; 4-byte Folded Reload
	buffer_load_dword a33, off, s[0:3], 0 offset:1916 ; 4-byte Folded Reload
	buffer_load_dword a34, off, s[0:3], 0 offset:1920 ; 4-byte Folded Reload
	buffer_load_dword a35, off, s[0:3], 0 offset:1924 ; 4-byte Folded Reload
	buffer_load_dword a36, off, s[0:3], 0 offset:1928 ; 4-byte Folded Reload
	buffer_load_dword a37, off, s[0:3], 0 offset:1932 ; 4-byte Folded Reload
	buffer_load_dword a38, off, s[0:3], 0 offset:1936 ; 4-byte Folded Reload
	buffer_load_dword a39, off, s[0:3], 0 offset:1940 ; 4-byte Folded Reload
	buffer_load_dword a40, off, s[0:3], 0 offset:1944 ; 4-byte Folded Reload
	buffer_load_dword a41, off, s[0:3], 0 offset:1948 ; 4-byte Folded Reload
	buffer_load_dword a42, off, s[0:3], 0 offset:1952 ; 4-byte Folded Reload
	buffer_load_dword a43, off, s[0:3], 0 offset:1956 ; 4-byte Folded Reload
	buffer_load_dword a44, off, s[0:3], 0 offset:1960 ; 4-byte Folded Reload
	buffer_load_dword a45, off, s[0:3], 0 offset:1964 ; 4-byte Folded Reload
	buffer_load_dword a46, off, s[0:3], 0 offset:1968 ; 4-byte Folded Reload
	buffer_load_dword a47, off, s[0:3], 0 offset:1972 ; 4-byte Folded Reload
	buffer_load_dword a48, off, s[0:3], 0 offset:1976 ; 4-byte Folded Reload
	buffer_load_dword a49, off, s[0:3], 0 offset:1980 ; 4-byte Folded Reload
	buffer_load_dword a50, off, s[0:3], 0 offset:1984 ; 4-byte Folded Reload
	buffer_load_dword a51, off, s[0:3], 0 offset:1988 ; 4-byte Folded Reload
	buffer_load_dword a52, off, s[0:3], 0 offset:1992 ; 4-byte Folded Reload
	buffer_load_dword a53, off, s[0:3], 0 offset:1996 ; 4-byte Folded Reload
	buffer_load_dword a54, off, s[0:3], 0 offset:2000 ; 4-byte Folded Reload
	buffer_load_dword a55, off, s[0:3], 0 offset:2004 ; 4-byte Folded Reload
	buffer_load_dword a56, off, s[0:3], 0 offset:2008 ; 4-byte Folded Reload
	buffer_load_dword a57, off, s[0:3], 0 offset:2012 ; 4-byte Folded Reload
	;; [unrolled: 35-line block ×4, first 2 shown]
	v_cndmask_b32_e64 v10, v1, v86, s[18:19]
	v_cndmask_b32_e32 v1, v24, v26, vcc
	v_cndmask_b32_e64 v1, v1, v28, s[6:7]
	s_waitcnt vmcnt(24)
	v_accvgpr_read_b32 v71, a33
	v_accvgpr_read_b32 v70, a32
	buffer_load_dword a26, off, s[0:3], 0 offset:608 ; 4-byte Folded Reload
	buffer_load_dword a27, off, s[0:3], 0 offset:612 ; 4-byte Folded Reload
	buffer_load_dword a28, off, s[0:3], 0 offset:616 ; 4-byte Folded Reload
	buffer_load_dword a29, off, s[0:3], 0 offset:620 ; 4-byte Folded Reload
	buffer_load_dword a30, off, s[0:3], 0 offset:624 ; 4-byte Folded Reload
	buffer_load_dword a31, off, s[0:3], 0 offset:628 ; 4-byte Folded Reload
	buffer_load_dword a32, off, s[0:3], 0 offset:632 ; 4-byte Folded Reload
	buffer_load_dword a33, off, s[0:3], 0 offset:636 ; 4-byte Folded Reload
	buffer_load_dword a34, off, s[0:3], 0 offset:640 ; 4-byte Folded Reload
	buffer_load_dword a35, off, s[0:3], 0 offset:644 ; 4-byte Folded Reload
	buffer_load_dword a36, off, s[0:3], 0 offset:648 ; 4-byte Folded Reload
	buffer_load_dword a37, off, s[0:3], 0 offset:652 ; 4-byte Folded Reload
	buffer_load_dword a38, off, s[0:3], 0 offset:656 ; 4-byte Folded Reload
	buffer_load_dword a39, off, s[0:3], 0 offset:660 ; 4-byte Folded Reload
	buffer_load_dword a40, off, s[0:3], 0 offset:664 ; 4-byte Folded Reload
	buffer_load_dword a41, off, s[0:3], 0 offset:668 ; 4-byte Folded Reload
	buffer_load_dword a42, off, s[0:3], 0 offset:672 ; 4-byte Folded Reload
	buffer_load_dword a43, off, s[0:3], 0 offset:676 ; 4-byte Folded Reload
	buffer_load_dword a44, off, s[0:3], 0 offset:680 ; 4-byte Folded Reload
	buffer_load_dword a45, off, s[0:3], 0 offset:684 ; 4-byte Folded Reload
	buffer_load_dword a46, off, s[0:3], 0 offset:688 ; 4-byte Folded Reload
	buffer_load_dword a47, off, s[0:3], 0 offset:692 ; 4-byte Folded Reload
	buffer_load_dword a48, off, s[0:3], 0 offset:696 ; 4-byte Folded Reload
	buffer_load_dword a49, off, s[0:3], 0 offset:700 ; 4-byte Folded Reload
	buffer_load_dword a50, off, s[0:3], 0 offset:704 ; 4-byte Folded Reload
	buffer_load_dword a51, off, s[0:3], 0 offset:708 ; 4-byte Folded Reload
	buffer_load_dword a52, off, s[0:3], 0 offset:712 ; 4-byte Folded Reload
	buffer_load_dword a53, off, s[0:3], 0 offset:716 ; 4-byte Folded Reload
	buffer_load_dword a54, off, s[0:3], 0 offset:720 ; 4-byte Folded Reload
	buffer_load_dword a55, off, s[0:3], 0 offset:724 ; 4-byte Folded Reload
	buffer_load_dword a56, off, s[0:3], 0 offset:728 ; 4-byte Folded Reload
	buffer_load_dword a57, off, s[0:3], 0 offset:732 ; 4-byte Folded Reload
	v_cndmask_b32_e64 v0, v0, v71, s[8:9]
	v_cndmask_b32_e64 v1, v1, v70, s[8:9]
	s_waitcnt vmcnt(22)
	v_accvgpr_read_b32 v51, a35
	v_accvgpr_read_b32 v50, a34
	buffer_load_dword a26, off, s[0:3], 0 offset:1632 ; 4-byte Folded Reload
	buffer_load_dword a27, off, s[0:3], 0 offset:1636 ; 4-byte Folded Reload
	;; [unrolled: 1-line block ×32, first 2 shown]
	v_cndmask_b32_e64 v0, v0, v51, s[10:11]
	v_cndmask_b32_e64 v1, v1, v50, s[10:11]
	;; [unrolled: 1-line block ×4, first 2 shown]
	s_waitcnt vmcnt(16)
	v_accvgpr_read_b32 v85, a41
	buffer_load_dword a26, off, s[0:3], 0 offset:1504 ; 4-byte Folded Reload
	buffer_load_dword a27, off, s[0:3], 0 offset:1508 ; 4-byte Folded Reload
	buffer_load_dword a28, off, s[0:3], 0 offset:1512 ; 4-byte Folded Reload
	buffer_load_dword a29, off, s[0:3], 0 offset:1516 ; 4-byte Folded Reload
	buffer_load_dword a30, off, s[0:3], 0 offset:1520 ; 4-byte Folded Reload
	buffer_load_dword a31, off, s[0:3], 0 offset:1524 ; 4-byte Folded Reload
	buffer_load_dword a32, off, s[0:3], 0 offset:1528 ; 4-byte Folded Reload
	buffer_load_dword a33, off, s[0:3], 0 offset:1532 ; 4-byte Folded Reload
	buffer_load_dword a34, off, s[0:3], 0 offset:1536 ; 4-byte Folded Reload
	buffer_load_dword a35, off, s[0:3], 0 offset:1540 ; 4-byte Folded Reload
	buffer_load_dword a36, off, s[0:3], 0 offset:1544 ; 4-byte Folded Reload
	buffer_load_dword a37, off, s[0:3], 0 offset:1548 ; 4-byte Folded Reload
	buffer_load_dword a38, off, s[0:3], 0 offset:1552 ; 4-byte Folded Reload
	buffer_load_dword a39, off, s[0:3], 0 offset:1556 ; 4-byte Folded Reload
	buffer_load_dword a40, off, s[0:3], 0 offset:1560 ; 4-byte Folded Reload
	buffer_load_dword a41, off, s[0:3], 0 offset:1564 ; 4-byte Folded Reload
	buffer_load_dword a42, off, s[0:3], 0 offset:1568 ; 4-byte Folded Reload
	buffer_load_dword a43, off, s[0:3], 0 offset:1572 ; 4-byte Folded Reload
	buffer_load_dword a44, off, s[0:3], 0 offset:1576 ; 4-byte Folded Reload
	buffer_load_dword a45, off, s[0:3], 0 offset:1580 ; 4-byte Folded Reload
	buffer_load_dword a46, off, s[0:3], 0 offset:1584 ; 4-byte Folded Reload
	buffer_load_dword a47, off, s[0:3], 0 offset:1588 ; 4-byte Folded Reload
	buffer_load_dword a48, off, s[0:3], 0 offset:1592 ; 4-byte Folded Reload
	buffer_load_dword a49, off, s[0:3], 0 offset:1596 ; 4-byte Folded Reload
	buffer_load_dword a50, off, s[0:3], 0 offset:1600 ; 4-byte Folded Reload
	buffer_load_dword a51, off, s[0:3], 0 offset:1604 ; 4-byte Folded Reload
	buffer_load_dword a52, off, s[0:3], 0 offset:1608 ; 4-byte Folded Reload
	buffer_load_dword a53, off, s[0:3], 0 offset:1612 ; 4-byte Folded Reload
	buffer_load_dword a54, off, s[0:3], 0 offset:1616 ; 4-byte Folded Reload
	buffer_load_dword a55, off, s[0:3], 0 offset:1620 ; 4-byte Folded Reload
	buffer_load_dword a56, off, s[0:3], 0 offset:1624 ; 4-byte Folded Reload
	buffer_load_dword a57, off, s[0:3], 0 offset:1628 ; 4-byte Folded Reload
	v_cndmask_b32_e64 v0, v0, v85, s[16:17]
	s_waitcnt vmcnt(21)
	v_accvgpr_read_b32 v84, a36
	buffer_load_dword a26, off, s[0:3], 0 offset:1376 ; 4-byte Folded Reload
	buffer_load_dword a27, off, s[0:3], 0 offset:1380 ; 4-byte Folded Reload
	buffer_load_dword a28, off, s[0:3], 0 offset:1384 ; 4-byte Folded Reload
	buffer_load_dword a29, off, s[0:3], 0 offset:1388 ; 4-byte Folded Reload
	buffer_load_dword a30, off, s[0:3], 0 offset:1392 ; 4-byte Folded Reload
	buffer_load_dword a31, off, s[0:3], 0 offset:1396 ; 4-byte Folded Reload
	buffer_load_dword a32, off, s[0:3], 0 offset:1400 ; 4-byte Folded Reload
	buffer_load_dword a33, off, s[0:3], 0 offset:1404 ; 4-byte Folded Reload
	buffer_load_dword a34, off, s[0:3], 0 offset:1408 ; 4-byte Folded Reload
	buffer_load_dword a35, off, s[0:3], 0 offset:1412 ; 4-byte Folded Reload
	buffer_load_dword a36, off, s[0:3], 0 offset:1416 ; 4-byte Folded Reload
	buffer_load_dword a37, off, s[0:3], 0 offset:1420 ; 4-byte Folded Reload
	buffer_load_dword a38, off, s[0:3], 0 offset:1424 ; 4-byte Folded Reload
	buffer_load_dword a39, off, s[0:3], 0 offset:1428 ; 4-byte Folded Reload
	buffer_load_dword a40, off, s[0:3], 0 offset:1432 ; 4-byte Folded Reload
	buffer_load_dword a41, off, s[0:3], 0 offset:1436 ; 4-byte Folded Reload
	buffer_load_dword a42, off, s[0:3], 0 offset:1440 ; 4-byte Folded Reload
	buffer_load_dword a43, off, s[0:3], 0 offset:1444 ; 4-byte Folded Reload
	buffer_load_dword a44, off, s[0:3], 0 offset:1448 ; 4-byte Folded Reload
	buffer_load_dword a45, off, s[0:3], 0 offset:1452 ; 4-byte Folded Reload
	buffer_load_dword a46, off, s[0:3], 0 offset:1456 ; 4-byte Folded Reload
	buffer_load_dword a47, off, s[0:3], 0 offset:1460 ; 4-byte Folded Reload
	buffer_load_dword a48, off, s[0:3], 0 offset:1464 ; 4-byte Folded Reload
	buffer_load_dword a49, off, s[0:3], 0 offset:1468 ; 4-byte Folded Reload
	buffer_load_dword a50, off, s[0:3], 0 offset:1472 ; 4-byte Folded Reload
	buffer_load_dword a51, off, s[0:3], 0 offset:1476 ; 4-byte Folded Reload
	buffer_load_dword a52, off, s[0:3], 0 offset:1480 ; 4-byte Folded Reload
	buffer_load_dword a53, off, s[0:3], 0 offset:1484 ; 4-byte Folded Reload
	buffer_load_dword a54, off, s[0:3], 0 offset:1488 ; 4-byte Folded Reload
	buffer_load_dword a55, off, s[0:3], 0 offset:1492 ; 4-byte Folded Reload
	buffer_load_dword a56, off, s[0:3], 0 offset:1496 ; 4-byte Folded Reload
	buffer_load_dword a57, off, s[0:3], 0 offset:1500 ; 4-byte Folded Reload
	v_cndmask_b32_e64 v1, v1, v84, s[12:13]
	;; [unrolled: 35-line block ×4, first 2 shown]
	v_cndmask_b32_e64 v12, v1, v78, s[18:19]
	v_cndmask_b32_e32 v1, v250, v252, vcc
	v_cndmask_b32_e64 v1, v1, v254, s[6:7]
	v_cndmask_b32_e64 v1, v1, v40, s[8:9]
	;; [unrolled: 1-line block ×5, first 2 shown]
	s_waitcnt vmcnt(14)
	v_accvgpr_read_b32 v83, a43
	buffer_load_dword a26, off, s[0:3], 0 offset:992 ; 4-byte Folded Reload
	buffer_load_dword a27, off, s[0:3], 0 offset:996 ; 4-byte Folded Reload
	;; [unrolled: 1-line block ×32, first 2 shown]
	v_cndmask_b32_e64 v13, v0, v83, s[18:19]
	v_cndmask_b32_e32 v0, v251, v253, vcc
	v_cndmask_b32_e64 v0, v0, v255, s[6:7]
	v_cndmask_b32_e64 v0, v0, v41, s[8:9]
	;; [unrolled: 1-line block ×5, first 2 shown]
	v_cmp_eq_u32_e32 vcc, 1, v18
	v_cmp_eq_u32_e64 s[6:7], 2, v18
	v_cmp_eq_u32_e64 s[8:9], 3, v18
	;; [unrolled: 1-line block ×5, first 2 shown]
	s_waitcnt vmcnt(16)
	v_accvgpr_read_b32 v77, a41
	buffer_load_dword a26, off, s[0:3], 0 offset:864 ; 4-byte Folded Reload
	buffer_load_dword a27, off, s[0:3], 0 offset:868 ; 4-byte Folded Reload
	;; [unrolled: 1-line block ×32, first 2 shown]
	v_cndmask_b32_e64 v0, v0, v77, s[16:17]
	s_waitcnt vmcnt(17)
	v_accvgpr_read_b32 v76, a40
	buffer_load_dword a26, off, s[0:3], 0 offset:736 ; 4-byte Folded Reload
	buffer_load_dword a27, off, s[0:3], 0 offset:740 ; 4-byte Folded Reload
	;; [unrolled: 1-line block ×32, first 2 shown]
	v_cndmask_b32_e64 v1, v1, v76, s[16:17]
	v_cmp_eq_u32_e64 s[16:17], 7, v18
	s_waitcnt vmcnt(14)
	v_accvgpr_read_b32 v73, a43
	buffer_load_dword a26, off, s[0:3], 0 offset:480 ; 4-byte Folded Reload
	buffer_load_dword a27, off, s[0:3], 0 offset:484 ; 4-byte Folded Reload
	;; [unrolled: 1-line block ×32, first 2 shown]
	v_cndmask_b32_e64 v15, v0, v73, s[18:19]
	v_cndmask_b32_e32 v0, v25, v27, vcc
	v_cndmask_b32_e64 v0, v0, v29, s[6:7]
	v_cndmask_b32_e64 v0, v0, v71, s[8:9]
	;; [unrolled: 1-line block ×6, first 2 shown]
	s_waitcnt vmcnt(15)
	v_accvgpr_read_b32 v72, a42
	v_cndmask_b32_e64 v14, v1, v72, s[18:19]
	v_cndmask_b32_e32 v1, v24, v26, vcc
	v_cndmask_b32_e64 v1, v1, v28, s[6:7]
	v_cndmask_b32_e64 v1, v1, v70, s[8:9]
	v_cndmask_b32_e64 v1, v1, v50, s[10:11]
	v_cndmask_b32_e64 v1, v1, v84, s[12:13]
	v_cndmask_b32_e64 v1, v1, v82, s[14:15]
	v_cmp_eq_u32_e64 s[18:19], 8, v18
	v_cndmask_b32_e64 v1, v1, v80, s[16:17]
	v_cndmask_b32_e64 v19, v0, v83, s[18:19]
	;; [unrolled: 1-line block ×3, first 2 shown]
	v_cndmask_b32_e32 v0, v103, v59, vcc
	v_cndmask_b32_e32 v1, v102, v58, vcc
	v_cndmask_b32_e64 v0, v0, v57, s[6:7]
	v_cndmask_b32_e64 v1, v1, v56, s[6:7]
	;; [unrolled: 1-line block ×14, first 2 shown]
	v_cndmask_b32_e32 v0, v251, v253, vcc
	v_cndmask_b32_e32 v1, v250, v252, vcc
	v_cndmask_b32_e64 v0, v0, v255, s[6:7]
	v_cndmask_b32_e64 v1, v1, v254, s[6:7]
	v_cndmask_b32_e64 v0, v0, v41, s[8:9]
	v_cndmask_b32_e64 v1, v1, v40, s[8:9]
	v_cndmask_b32_e64 v0, v0, v75, s[10:11]
	v_cndmask_b32_e64 v1, v1, v74, s[10:11]
	v_cndmask_b32_e64 v0, v0, v81, s[12:13]
	v_cndmask_b32_e64 v1, v1, v110, s[12:13]
	v_cndmask_b32_e64 v0, v0, v79, s[14:15]
	v_cndmask_b32_e64 v1, v1, v146, s[14:15]
	v_cndmask_b32_e64 v0, v0, v77, s[16:17]
	v_cndmask_b32_e64 v1, v1, v76, s[16:17]
	v_cndmask_b32_e64 v29, v0, v73, s[18:19]
	v_cndmask_b32_e64 v28, v1, v72, s[18:19]
	v_add_f64 v[34:35], v[18:19], -v[12:13]
	v_add_f64 v[30:31], v[26:27], -v[10:11]
	v_mul_f64 v[20:21], v[14:15], v[10:11]
	v_mul_f64 v[22:23], v[12:13], v[14:15]
	;; [unrolled: 1-line block ×3, first 2 shown]
	v_pk_mov_b32 v[0:1], v[6:7], v[6:7] op_sel:[0,1]
.LBB2_93:                               ; =>This Inner Loop Header: Depth=1
	v_cmp_eq_u32_e32 vcc, 1, v17
	v_cmp_eq_u32_e64 s[6:7], 2, v17
	v_cmp_eq_u32_e64 s[8:9], 3, v17
	;; [unrolled: 1-line block ×7, first 2 shown]
	v_lshl_add_u32 v17, v17, 2, v209
	buffer_load_dword v17, v17, s[0:3], 0 offen
	v_cndmask_b32_e32 v38, v103, v59, vcc
	v_cndmask_b32_e32 v39, v102, v58, vcc
	v_cndmask_b32_e64 v38, v38, v57, s[6:7]
	v_cndmask_b32_e64 v39, v39, v56, s[6:7]
	;; [unrolled: 1-line block ×14, first 2 shown]
	v_cndmask_b32_e32 v42, v65, v63, vcc
	v_cndmask_b32_e32 v43, v64, v62, vcc
	v_cndmask_b32_e64 v42, v42, v61, s[6:7]
	v_cndmask_b32_e64 v43, v43, v60, s[6:7]
	;; [unrolled: 1-line block ×14, first 2 shown]
	v_add_f64 v[44:45], v[38:39], -v[10:11]
	v_mul_f64 v[34:35], v[44:45], v[34:35]
	v_add_f64 v[46:47], v[42:43], -v[12:13]
	v_fma_f64 v[30:31], v[46:47], v[30:31], -v[34:35]
	v_cndmask_b32_e32 v34, v251, v253, vcc
	v_cndmask_b32_e32 v35, v250, v252, vcc
	v_cndmask_b32_e64 v34, v34, v255, s[6:7]
	v_cndmask_b32_e64 v35, v35, v254, s[6:7]
	;; [unrolled: 1-line block ×14, first 2 shown]
	v_fma_f64 v[52:53], v[28:29], v[28:29], v[24:25]
	v_fmac_f64_e32 v[52:53], v[48:49], v[48:49]
	v_fmac_f64_e32 v[52:53], v[14:15], v[28:29]
	;; [unrolled: 1-line block ×3, first 2 shown]
	v_add_f64 v[54:55], v[14:15], v[28:29]
	v_add_f64 v[34:35], v[10:11], v[26:27]
	v_fma_f64 v[26:27], v[26:27], v[28:29], v[20:21]
	v_fmac_f64_e32 v[52:53], v[48:49], v[28:29]
	v_fma_f64 v[28:29], v[18:19], v[28:29], v[22:23]
	v_add_f64 v[18:19], v[12:13], v[18:19]
	v_add_f64 v[54:55], v[48:49], v[54:55]
	;; [unrolled: 1-line block ×4, first 2 shown]
	v_fmac_f64_e32 v[6:7], v[54:55], v[30:31]
	v_mul_f64 v[54:55], v[54:55], v[30:31]
	v_mul_f64 v[34:35], v[34:35], v[54:55]
	;; [unrolled: 1-line block ×3, first 2 shown]
	v_fmac_f64_e32 v[26:27], v[48:49], v[38:39]
	v_fmac_f64_e32 v[28:29], v[42:43], v[48:49]
	;; [unrolled: 1-line block ×5, first 2 shown]
	v_add_f64 v[0:1], v[0:1], v[34:35]
	v_add_f64 v[2:3], v[2:3], v[18:19]
	v_pk_mov_b32 v[26:27], v[38:39], v[38:39] op_sel:[0,1]
	v_pk_mov_b32 v[18:19], v[42:43], v[42:43] op_sel:[0,1]
	;; [unrolled: 1-line block ×3, first 2 shown]
	s_waitcnt vmcnt(0)
	v_cmp_gt_i32_e32 vcc, 0, v17
	v_pk_mov_b32 v[30:31], v[44:45], v[44:45] op_sel:[0,1]
	s_or_b64 s[24:25], vcc, s[24:25]
	v_pk_mov_b32 v[28:29], v[48:49], v[48:49] op_sel:[0,1]
	s_andn2_b64 exec, exec, s[24:25]
	s_cbranch_execnz .LBB2_93
; %bb.94:
	s_or_b64 exec, exec, s[24:25]
	v_pk_mov_b32 v[28:29], v[60:61], v[60:61] op_sel:[0,1]
	v_pk_mov_b32 v[26:27], v[62:63], v[62:63] op_sel:[0,1]
	;; [unrolled: 1-line block ×3, first 2 shown]
.LBB2_95:
	s_or_b64 exec, exec, s[22:23]
.LBB2_96:
	s_or_b64 exec, exec, s[20:21]
	s_and_saveexec_b64 s[22:23], s[4:5]
	s_cbranch_execz .LBB2_100
; %bb.97:
	s_mov_b32 s26, 0x4ad4b81f
	s_mov_b64 s[24:25], 0
	s_mov_b32 s27, 0xb58dee7a
	v_mov_b32_e32 v8, 0
	v_mov_b32_e32 v9, v36
	v_accvgpr_read_b32 v17, a75
	v_accvgpr_read_b32 v15, a91
	;; [unrolled: 1-line block ×4, first 2 shown]
.LBB2_98:                               ; =>This Inner Loop Header: Depth=1
	v_cmp_eq_u32_e32 vcc, 1, v9
	v_cmp_eq_u32_e64 s[6:7], 2, v9
	v_cmp_eq_u32_e64 s[8:9], 3, v9
	;; [unrolled: 1-line block ×8, first 2 shown]
	v_lshl_add_u32 v9, v9, 2, v8
	buffer_load_dword v9, v9, s[0:3], 0 offen
	v_cndmask_b32_e32 v10, v249, v33, vcc
	v_cndmask_b32_e32 v11, v248, v32, vcc
	v_cndmask_b32_e64 v10, v10, v205, s[6:7]
	v_cndmask_b32_e64 v11, v11, v204, s[6:7]
	;; [unrolled: 1-line block ×14, first 2 shown]
	v_add_f64 v[10:11], -v[10:11], s[26:27]
	v_cndmask_b32_e32 v33, v33, v11, vcc
	v_cndmask_b32_e32 v32, v32, v10, vcc
	v_cndmask_b32_e64 v17, v17, v11, s[18:19]
	v_cndmask_b32_e64 v16, v16, v10, s[18:19]
	;; [unrolled: 1-line block ×16, first 2 shown]
	s_waitcnt vmcnt(0)
	v_cmp_gt_i32_e32 vcc, 0, v9
	s_or_b64 s[24:25], vcc, s[24:25]
	s_andn2_b64 exec, exec, s[24:25]
	s_cbranch_execnz .LBB2_98
; %bb.99:
	s_or_b64 exec, exec, s[24:25]
	v_cmp_eq_u32_e32 vcc, 1, v36
	v_cndmask_b32_e32 v8, v249, v33, vcc
	v_cmp_eq_u32_e64 s[6:7], 2, v36
	v_cndmask_b32_e32 v9, v248, v32, vcc
	v_cndmask_b32_e64 v8, v8, v205, s[6:7]
	v_cmp_eq_u32_e64 s[8:9], 3, v36
	v_cndmask_b32_e64 v9, v9, v204, s[6:7]
	v_cndmask_b32_e64 v8, v8, v99, s[8:9]
	v_cmp_eq_u32_e64 s[10:11], 4, v36
	v_cndmask_b32_e64 v9, v9, v98, s[8:9]
	;; [unrolled: 3-line block ×5, first 2 shown]
	v_cndmask_b32_e64 v8, v8, v15, s[16:17]
	v_cndmask_b32_e64 v10, v9, v170, s[16:17]
	v_cmp_eq_u32_e32 vcc, 8, v36
	v_accvgpr_write_b32 a103, v19
	v_accvgpr_write_b32 a187, v13
	v_accvgpr_write_b32 a91, v15
	v_accvgpr_write_b32 a75, v17
	v_cndmask_b32_e32 v9, v8, v17, vcc
	v_cndmask_b32_e32 v8, v10, v16, vcc
.LBB2_100:
	s_or_b64 exec, exec, s[22:23]
	v_pk_mov_b32 v[12:13], -1, -1
	v_mov_b32_e32 v20, -1
	v_pk_mov_b32 v[14:15], v[12:13], v[12:13] op_sel:[0,1]
	v_pk_mov_b32 v[10:11], v[8:9], v[8:9] op_sel:[0,1]
	v_mov_b32_e32 v21, -1
	s_and_saveexec_b64 s[14:15], s[4:5]
	s_cbranch_execz .LBB2_104
; %bb.101:
	s_mov_b64 s[16:17], 0
	v_mov_b32_e32 v20, -1
	v_mov_b32_e32 v13, 0
	v_mov_b32_e32 v15, v36
	v_mov_b32_e32 v12, -1
	v_mov_b32_e32 v14, -1
	v_mov_b32_e32 v21, -1
	v_pk_mov_b32 v[18:19], v[8:9], v[8:9] op_sel:[0,1]
	v_accvgpr_read_b32 v25, a75
	v_accvgpr_read_b32 v31, a91
	;; [unrolled: 1-line block ×4, first 2 shown]
.LBB2_102:                              ; =>This Inner Loop Header: Depth=1
	v_lshl_add_u32 v10, v15, 2, v13
	buffer_load_dword v17, v10, s[0:3], 0 offen
	s_waitcnt vmcnt(0)
	v_cmp_gt_i32_e32 vcc, 0, v17
	v_cndmask_b32_e32 v24, v17, v36, vcc
	v_cmp_eq_u32_e64 s[6:7], 1, v24
	v_cndmask_b32_e64 v10, v249, v33, s[6:7]
	v_cmp_eq_u32_e64 s[8:9], 2, v24
	v_cndmask_b32_e64 v11, v248, v32, s[6:7]
	v_cndmask_b32_e64 v10, v10, v205, s[8:9]
	v_cmp_eq_u32_e64 s[10:11], 3, v24
	v_cndmask_b32_e64 v11, v11, v204, s[8:9]
	;; [unrolled: 3-line block ×6, first 2 shown]
	v_cndmask_b32_e64 v10, v10, v31, s[8:9]
	v_cndmask_b32_e64 v11, v11, v170, s[8:9]
	v_cmp_eq_u32_e64 s[6:7], 8, v24
	v_cndmask_b32_e64 v23, v10, v25, s[6:7]
	v_cndmask_b32_e64 v22, v11, v16, s[6:7]
	v_pk_mov_b32 v[10:11], v[18:19], v[18:19] op_sel:[0,1]
	v_cmp_le_f64_e64 s[6:7], 0, v[10:11]
	v_cmp_gt_f64_e64 s[8:9], 0, v[10:11]
	v_cmp_gt_f64_e64 s[10:11], 0, v[22:23]
	v_cmp_le_f64_e64 s[12:13], 0, v[22:23]
	s_and_b64 s[6:7], s[6:7], s[10:11]
	s_and_b64 s[8:9], s[8:9], s[12:13]
	v_cndmask_b32_e64 v14, v14, v24, s[6:7]
	v_cndmask_b32_e64 v21, v21, v24, s[8:9]
	;; [unrolled: 1-line block ×4, first 2 shown]
	s_or_b64 s[16:17], vcc, s[16:17]
	v_mov_b32_e32 v15, v17
	v_pk_mov_b32 v[18:19], v[22:23], v[22:23] op_sel:[0,1]
	s_andn2_b64 exec, exec, s[16:17]
	s_cbranch_execnz .LBB2_102
; %bb.103:
	s_or_b64 exec, exec, s[16:17]
	v_pk_mov_b32 v[24:25], v[104:105], v[104:105] op_sel:[0,1]
.LBB2_104:
	s_or_b64 exec, exec, s[14:15]
	v_cmp_lt_i32_e64 s[6:7], -1, v20
	v_mov_b32_e32 v18, -1
	v_mov_b32_e32 v13, -1
	;; [unrolled: 1-line block ×3, first 2 shown]
	s_and_saveexec_b64 s[56:57], s[6:7]
	s_cbranch_execz .LBB2_106
; %bb.105:
	buffer_load_dword a26, off, s[0:3], 0 offset:224 ; 4-byte Folded Reload
	buffer_load_dword a27, off, s[0:3], 0 offset:228 ; 4-byte Folded Reload
	;; [unrolled: 1-line block ×32, first 2 shown]
	v_cmp_eq_u32_e64 s[8:9], 1, v14
	v_cndmask_b32_e64 v13, v249, v33, s[8:9]
	v_cmp_eq_u32_e64 s[10:11], 2, v14
	v_cndmask_b32_e64 v13, v13, v205, s[10:11]
	;; [unrolled: 2-line block ×4, first 2 shown]
	v_cmp_eq_u32_e64 s[16:17], 5, v14
	v_accvgpr_read_b32 v101, a103
	v_cndmask_b32_e64 v13, v13, v101, s[16:17]
	v_cmp_eq_u32_e64 s[18:19], 6, v14
	v_accvgpr_read_b32 v97, a187
	v_cndmask_b32_e64 v13, v13, v97, s[18:19]
	;; [unrolled: 3-line block ×3, first 2 shown]
	v_cmp_eq_u32_e64 s[22:23], 8, v14
	v_accvgpr_read_b32 v83, a75
	v_cmp_eq_u32_e64 s[24:25], 1, v20
	v_cndmask_b32_e64 v14, v248, v32, s[8:9]
	v_cndmask_b32_e64 v15, v13, v83, s[22:23]
	v_cndmask_b32_e64 v13, v249, v33, s[24:25]
	v_cmp_eq_u32_e64 s[26:27], 2, v20
	v_cndmask_b32_e64 v17, v248, v32, s[24:25]
	v_cndmask_b32_e64 v14, v14, v204, s[10:11]
	v_cndmask_b32_e64 v13, v13, v205, s[26:27]
	;; [unrolled: 4-line block ×7, first 2 shown]
	v_cndmask_b32_e64 v17, v17, v170, s[38:39]
	v_cmp_eq_u32_e64 s[42:43], 8, v20
	v_cndmask_b32_e64 v14, v14, v16, s[22:23]
	v_cndmask_b32_e64 v45, v13, v83, s[42:43]
	;; [unrolled: 1-line block ×3, first 2 shown]
	v_add_f64 v[22:23], -v[14:15], 0
	v_pk_mov_b32 v[94:95], v[24:25], v[24:25] op_sel:[0,1]
	v_add_f64 v[24:25], v[44:45], -v[14:15]
	v_pk_mov_b32 v[92:93], v[26:27], v[26:27] op_sel:[0,1]
	v_div_scale_f64 v[26:27], s[40:41], v[24:25], v[24:25], v[22:23]
	v_pk_mov_b32 v[90:91], v[28:29], v[28:29] op_sel:[0,1]
	v_rcp_f64_e32 v[28:29], v[26:27]
	v_accvgpr_read_b32 v65, a25
	v_accvgpr_read_b32 v63, a13
	;; [unrolled: 1-line block ×3, first 2 shown]
	v_fma_f64 v[30:31], -v[26:27], v[28:29], 1.0
	v_fmac_f64_e32 v[28:29], v[28:29], v[30:31]
	v_fma_f64 v[30:31], -v[26:27], v[28:29], 1.0
	v_fmac_f64_e32 v[28:29], v[28:29], v[30:31]
	v_div_scale_f64 v[30:31], vcc, v[22:23], v[24:25], v[22:23]
	v_mul_f64 v[34:35], v[30:31], v[28:29]
	v_fma_f64 v[26:27], -v[26:27], v[34:35], v[30:31]
	v_accvgpr_read_b32 v89, a255
	s_nop 0
	v_div_fmas_f64 v[26:27], v[26:27], v[28:29], v[34:35]
	v_div_fixup_f64 v[46:47], v[26:27], v[24:25], v[22:23]
	v_accvgpr_read_b32 v86, a250
	v_cndmask_b32_e64 v13, v103, v89, s[24:25]
	v_accvgpr_read_b32 v87, a251
	v_cndmask_b32_e64 v17, v102, v88, s[24:25]
	v_cndmask_b32_e64 v13, v13, v87, s[26:27]
	s_waitcnt vmcnt(24)
	v_accvgpr_read_b32 v30, a32
	v_accvgpr_read_b32 v31, a33
	buffer_load_dword a26, off, s[0:3], 0 offset:96 ; 4-byte Folded Reload
	buffer_load_dword a27, off, s[0:3], 0 offset:100 ; 4-byte Folded Reload
	;; [unrolled: 1-line block ×32, first 2 shown]
	v_cndmask_b32_e64 v17, v17, v86, s[26:27]
	v_cndmask_b32_e64 v13, v13, v31, s[28:29]
	;; [unrolled: 1-line block ×3, first 2 shown]
	v_accvgpr_read_b32 v43, a217
	v_accvgpr_read_b32 v39, a117
	v_accvgpr_read_b32 v27, a169
	v_accvgpr_read_b32 v19, a205
	v_add_f64 v[48:49], -v[46:47], 1.0
	v_cmp_eq_u32_e64 s[46:47], 7, v37
	v_cmp_eq_u32_e64 s[48:49], 6, v37
	;; [unrolled: 1-line block ×5, first 2 shown]
	v_cmp_eq_u32_e32 vcc, 4, v37
	v_accvgpr_read_b32 v77, a153
	v_accvgpr_read_b32 v73, a141
	v_mul_f64 v[14:15], v[14:15], v[48:49]
	v_fmac_f64_e32 v[14:15], v[44:45], v[46:47]
	v_cndmask_b32_e64 v78, v16, v14, s[44:45]
	v_cndmask_b32_e64 v99, v99, v15, s[40:41]
	;; [unrolled: 1-line block ×3, first 2 shown]
	v_cndmask_b32_e32 v98, v133, v15, vcc
	v_cndmask_b32_e64 v82, v83, v15, s[44:45]
	v_cndmask_b32_e64 v83, v85, v15, s[46:47]
	;; [unrolled: 1-line block ×7, first 2 shown]
	s_waitcnt vmcnt(22)
	v_accvgpr_read_b32 v34, a34
	v_accvgpr_read_b32 v35, a35
	buffer_load_dword a26, off, s[0:3], 0 offset:2144 ; 4-byte Folded Reload
	buffer_load_dword a27, off, s[0:3], 0 offset:2148 ; 4-byte Folded Reload
	;; [unrolled: 1-line block ×32, first 2 shown]
	v_cndmask_b32_e64 v13, v13, v35, s[30:31]
	v_cndmask_b32_e64 v17, v17, v34, s[30:31]
	;; [unrolled: 1-line block ×16, first 2 shown]
	s_waitcnt vmcnt(21)
	v_accvgpr_read_b32 v42, a36
	buffer_load_dword a26, off, s[0:3], 0 offset:2016 ; 4-byte Folded Reload
	buffer_load_dword a27, off, s[0:3], 0 offset:2020 ; 4-byte Folded Reload
	buffer_load_dword a28, off, s[0:3], 0 offset:2024 ; 4-byte Folded Reload
	buffer_load_dword a29, off, s[0:3], 0 offset:2028 ; 4-byte Folded Reload
	buffer_load_dword a30, off, s[0:3], 0 offset:2032 ; 4-byte Folded Reload
	buffer_load_dword a31, off, s[0:3], 0 offset:2036 ; 4-byte Folded Reload
	buffer_load_dword a32, off, s[0:3], 0 offset:2040 ; 4-byte Folded Reload
	buffer_load_dword a33, off, s[0:3], 0 offset:2044 ; 4-byte Folded Reload
	buffer_load_dword a34, off, s[0:3], 0 offset:2048 ; 4-byte Folded Reload
	buffer_load_dword a35, off, s[0:3], 0 offset:2052 ; 4-byte Folded Reload
	buffer_load_dword a36, off, s[0:3], 0 offset:2056 ; 4-byte Folded Reload
	buffer_load_dword a37, off, s[0:3], 0 offset:2060 ; 4-byte Folded Reload
	buffer_load_dword a38, off, s[0:3], 0 offset:2064 ; 4-byte Folded Reload
	buffer_load_dword a39, off, s[0:3], 0 offset:2068 ; 4-byte Folded Reload
	buffer_load_dword a40, off, s[0:3], 0 offset:2072 ; 4-byte Folded Reload
	buffer_load_dword a41, off, s[0:3], 0 offset:2076 ; 4-byte Folded Reload
	buffer_load_dword a42, off, s[0:3], 0 offset:2080 ; 4-byte Folded Reload
	buffer_load_dword a43, off, s[0:3], 0 offset:2084 ; 4-byte Folded Reload
	buffer_load_dword a44, off, s[0:3], 0 offset:2088 ; 4-byte Folded Reload
	buffer_load_dword a45, off, s[0:3], 0 offset:2092 ; 4-byte Folded Reload
	buffer_load_dword a46, off, s[0:3], 0 offset:2096 ; 4-byte Folded Reload
	buffer_load_dword a47, off, s[0:3], 0 offset:2100 ; 4-byte Folded Reload
	buffer_load_dword a48, off, s[0:3], 0 offset:2104 ; 4-byte Folded Reload
	buffer_load_dword a49, off, s[0:3], 0 offset:2108 ; 4-byte Folded Reload
	buffer_load_dword a50, off, s[0:3], 0 offset:2112 ; 4-byte Folded Reload
	buffer_load_dword a51, off, s[0:3], 0 offset:2116 ; 4-byte Folded Reload
	buffer_load_dword a52, off, s[0:3], 0 offset:2120 ; 4-byte Folded Reload
	buffer_load_dword a53, off, s[0:3], 0 offset:2124 ; 4-byte Folded Reload
	buffer_load_dword a54, off, s[0:3], 0 offset:2128 ; 4-byte Folded Reload
	buffer_load_dword a55, off, s[0:3], 0 offset:2132 ; 4-byte Folded Reload
	buffer_load_dword a56, off, s[0:3], 0 offset:2136 ; 4-byte Folded Reload
	buffer_load_dword a57, off, s[0:3], 0 offset:2140 ; 4-byte Folded Reload
	v_cndmask_b32_e64 v17, v17, v42, s[34:35]
	s_waitcnt vmcnt(19)
	v_accvgpr_read_b32 v38, a38
	buffer_load_dword a26, off, s[0:3], 0 offset:1888 ; 4-byte Folded Reload
	buffer_load_dword a27, off, s[0:3], 0 offset:1892 ; 4-byte Folded Reload
	buffer_load_dword a28, off, s[0:3], 0 offset:1896 ; 4-byte Folded Reload
	buffer_load_dword a29, off, s[0:3], 0 offset:1900 ; 4-byte Folded Reload
	buffer_load_dword a30, off, s[0:3], 0 offset:1904 ; 4-byte Folded Reload
	buffer_load_dword a31, off, s[0:3], 0 offset:1908 ; 4-byte Folded Reload
	buffer_load_dword a32, off, s[0:3], 0 offset:1912 ; 4-byte Folded Reload
	buffer_load_dword a33, off, s[0:3], 0 offset:1916 ; 4-byte Folded Reload
	buffer_load_dword a34, off, s[0:3], 0 offset:1920 ; 4-byte Folded Reload
	buffer_load_dword a35, off, s[0:3], 0 offset:1924 ; 4-byte Folded Reload
	buffer_load_dword a36, off, s[0:3], 0 offset:1928 ; 4-byte Folded Reload
	buffer_load_dword a37, off, s[0:3], 0 offset:1932 ; 4-byte Folded Reload
	buffer_load_dword a38, off, s[0:3], 0 offset:1936 ; 4-byte Folded Reload
	buffer_load_dword a39, off, s[0:3], 0 offset:1940 ; 4-byte Folded Reload
	buffer_load_dword a40, off, s[0:3], 0 offset:1944 ; 4-byte Folded Reload
	buffer_load_dword a41, off, s[0:3], 0 offset:1948 ; 4-byte Folded Reload
	buffer_load_dword a42, off, s[0:3], 0 offset:1952 ; 4-byte Folded Reload
	buffer_load_dword a43, off, s[0:3], 0 offset:1956 ; 4-byte Folded Reload
	buffer_load_dword a44, off, s[0:3], 0 offset:1960 ; 4-byte Folded Reload
	buffer_load_dword a45, off, s[0:3], 0 offset:1964 ; 4-byte Folded Reload
	buffer_load_dword a46, off, s[0:3], 0 offset:1968 ; 4-byte Folded Reload
	buffer_load_dword a47, off, s[0:3], 0 offset:1972 ; 4-byte Folded Reload
	buffer_load_dword a48, off, s[0:3], 0 offset:1976 ; 4-byte Folded Reload
	buffer_load_dword a49, off, s[0:3], 0 offset:1980 ; 4-byte Folded Reload
	buffer_load_dword a50, off, s[0:3], 0 offset:1984 ; 4-byte Folded Reload
	buffer_load_dword a51, off, s[0:3], 0 offset:1988 ; 4-byte Folded Reload
	buffer_load_dword a52, off, s[0:3], 0 offset:1992 ; 4-byte Folded Reload
	buffer_load_dword a53, off, s[0:3], 0 offset:1996 ; 4-byte Folded Reload
	buffer_load_dword a54, off, s[0:3], 0 offset:2000 ; 4-byte Folded Reload
	buffer_load_dword a55, off, s[0:3], 0 offset:2004 ; 4-byte Folded Reload
	buffer_load_dword a56, off, s[0:3], 0 offset:2008 ; 4-byte Folded Reload
	buffer_load_dword a57, off, s[0:3], 0 offset:2012 ; 4-byte Folded Reload
	v_cndmask_b32_e64 v17, v17, v38, s[36:37]
	;; [unrolled: 35-line block ×4, first 2 shown]
	v_cndmask_b32_e64 v17, v102, v88, s[8:9]
	v_cndmask_b32_e64 v17, v17, v86, s[10:11]
	;; [unrolled: 1-line block ×8, first 2 shown]
	v_mul_f64 v[52:53], v[24:25], v[48:49]
	v_fmac_f64_e32 v[52:53], v[22:23], v[46:47]
	v_cndmask_b32_e64 v23, v28, v52, s[46:47]
	v_cndmask_b32_e64 v28, v27, v53, s[46:47]
	v_cndmask_b32_e64 v27, v39, v53, s[48:49]
	v_cndmask_b32_e64 v25, v42, v52, s[50:51]
	v_cndmask_b32_e64 v29, v19, v53, s[44:45]
	v_cndmask_b32_e64 v17, v94, v92, s[24:25]
	v_cndmask_b32_e64 v17, v17, v90, s[26:27]
	v_cndmask_b32_e64 v24, v38, v52, s[48:49]
	v_accvgpr_read_b32 v38, a58
	v_cndmask_b32_e64 v60, v30, v52, s[40:41]
	v_cndmask_b32_e64 v61, v31, v53, s[40:41]
	v_cndmask_b32_e32 v58, v34, v52, vcc
	v_cndmask_b32_e32 v59, v35, v53, vcc
	v_cndmask_b32_e64 v22, v26, v52, s[44:45]
	v_cndmask_b32_e64 v26, v43, v53, s[50:51]
	s_waitcnt vmcnt(24)
	v_accvgpr_read_b32 v57, a33
	v_accvgpr_read_b32 v56, a32
	buffer_load_dword a26, off, s[0:3], 0 offset:608 ; 4-byte Folded Reload
	buffer_load_dword a27, off, s[0:3], 0 offset:612 ; 4-byte Folded Reload
	;; [unrolled: 1-line block ×64, first 2 shown]
	v_cndmask_b32_e64 v13, v13, v57, s[28:29]
	v_cndmask_b32_e64 v17, v17, v56, s[28:29]
	s_waitcnt vmcnt(54)
	v_accvgpr_read_b32 v51, a35
	s_waitcnt vmcnt(16)
	v_accvgpr_read_b32 v39, a15
	buffer_load_dword a0, off, s[0:3], 0 offset:1504 ; 4-byte Folded Reload
	buffer_load_dword a1, off, s[0:3], 0 offset:1508 ; 4-byte Folded Reload
	;; [unrolled: 1-line block ×32, first 2 shown]
	v_accvgpr_read_b32 v50, a34
	v_cndmask_b32_e64 v13, v13, v51, s[30:31]
	v_cndmask_b32_e64 v17, v17, v50, s[30:31]
	;; [unrolled: 1-line block ×5, first 2 shown]
	s_waitcnt vmcnt(21)
	v_accvgpr_read_b32 v64, a10
	buffer_load_dword a0, off, s[0:3], 0 offset:1376 ; 4-byte Folded Reload
	buffer_load_dword a1, off, s[0:3], 0 offset:1380 ; 4-byte Folded Reload
	buffer_load_dword a2, off, s[0:3], 0 offset:1384 ; 4-byte Folded Reload
	buffer_load_dword a3, off, s[0:3], 0 offset:1388 ; 4-byte Folded Reload
	buffer_load_dword a4, off, s[0:3], 0 offset:1392 ; 4-byte Folded Reload
	buffer_load_dword a5, off, s[0:3], 0 offset:1396 ; 4-byte Folded Reload
	buffer_load_dword a6, off, s[0:3], 0 offset:1400 ; 4-byte Folded Reload
	buffer_load_dword a7, off, s[0:3], 0 offset:1404 ; 4-byte Folded Reload
	buffer_load_dword a8, off, s[0:3], 0 offset:1408 ; 4-byte Folded Reload
	buffer_load_dword a9, off, s[0:3], 0 offset:1412 ; 4-byte Folded Reload
	buffer_load_dword a10, off, s[0:3], 0 offset:1416 ; 4-byte Folded Reload
	buffer_load_dword a11, off, s[0:3], 0 offset:1420 ; 4-byte Folded Reload
	buffer_load_dword a12, off, s[0:3], 0 offset:1424 ; 4-byte Folded Reload
	buffer_load_dword a13, off, s[0:3], 0 offset:1428 ; 4-byte Folded Reload
	buffer_load_dword a14, off, s[0:3], 0 offset:1432 ; 4-byte Folded Reload
	buffer_load_dword a15, off, s[0:3], 0 offset:1436 ; 4-byte Folded Reload
	buffer_load_dword a16, off, s[0:3], 0 offset:1440 ; 4-byte Folded Reload
	buffer_load_dword a17, off, s[0:3], 0 offset:1444 ; 4-byte Folded Reload
	buffer_load_dword a18, off, s[0:3], 0 offset:1448 ; 4-byte Folded Reload
	buffer_load_dword a19, off, s[0:3], 0 offset:1452 ; 4-byte Folded Reload
	buffer_load_dword a20, off, s[0:3], 0 offset:1456 ; 4-byte Folded Reload
	buffer_load_dword a21, off, s[0:3], 0 offset:1460 ; 4-byte Folded Reload
	buffer_load_dword a22, off, s[0:3], 0 offset:1464 ; 4-byte Folded Reload
	buffer_load_dword a23, off, s[0:3], 0 offset:1468 ; 4-byte Folded Reload
	buffer_load_dword a24, off, s[0:3], 0 offset:1472 ; 4-byte Folded Reload
	buffer_load_dword a25, off, s[0:3], 0 offset:1476 ; 4-byte Folded Reload
	buffer_load_dword a26, off, s[0:3], 0 offset:1480 ; 4-byte Folded Reload
	buffer_load_dword a27, off, s[0:3], 0 offset:1484 ; 4-byte Folded Reload
	buffer_load_dword a28, off, s[0:3], 0 offset:1488 ; 4-byte Folded Reload
	buffer_load_dword a29, off, s[0:3], 0 offset:1492 ; 4-byte Folded Reload
	buffer_load_dword a30, off, s[0:3], 0 offset:1496 ; 4-byte Folded Reload
	buffer_load_dword a31, off, s[0:3], 0 offset:1500 ; 4-byte Folded Reload
	v_cndmask_b32_e64 v17, v17, v64, s[34:35]
	s_waitcnt vmcnt(19)
	v_accvgpr_read_b32 v62, a12
	buffer_load_dword a0, off, s[0:3], 0 offset:1120 ; 4-byte Folded Reload
	buffer_load_dword a1, off, s[0:3], 0 offset:1124 ; 4-byte Folded Reload
	buffer_load_dword a2, off, s[0:3], 0 offset:1128 ; 4-byte Folded Reload
	buffer_load_dword a3, off, s[0:3], 0 offset:1132 ; 4-byte Folded Reload
	buffer_load_dword a4, off, s[0:3], 0 offset:1136 ; 4-byte Folded Reload
	buffer_load_dword a5, off, s[0:3], 0 offset:1140 ; 4-byte Folded Reload
	buffer_load_dword a6, off, s[0:3], 0 offset:1144 ; 4-byte Folded Reload
	buffer_load_dword a7, off, s[0:3], 0 offset:1148 ; 4-byte Folded Reload
	buffer_load_dword a8, off, s[0:3], 0 offset:1152 ; 4-byte Folded Reload
	buffer_load_dword a9, off, s[0:3], 0 offset:1156 ; 4-byte Folded Reload
	buffer_load_dword a10, off, s[0:3], 0 offset:1160 ; 4-byte Folded Reload
	buffer_load_dword a11, off, s[0:3], 0 offset:1164 ; 4-byte Folded Reload
	buffer_load_dword a12, off, s[0:3], 0 offset:1168 ; 4-byte Folded Reload
	buffer_load_dword a13, off, s[0:3], 0 offset:1172 ; 4-byte Folded Reload
	buffer_load_dword a14, off, s[0:3], 0 offset:1176 ; 4-byte Folded Reload
	buffer_load_dword a15, off, s[0:3], 0 offset:1180 ; 4-byte Folded Reload
	buffer_load_dword a16, off, s[0:3], 0 offset:1184 ; 4-byte Folded Reload
	buffer_load_dword a17, off, s[0:3], 0 offset:1188 ; 4-byte Folded Reload
	buffer_load_dword a18, off, s[0:3], 0 offset:1192 ; 4-byte Folded Reload
	buffer_load_dword a19, off, s[0:3], 0 offset:1196 ; 4-byte Folded Reload
	buffer_load_dword a20, off, s[0:3], 0 offset:1200 ; 4-byte Folded Reload
	buffer_load_dword a21, off, s[0:3], 0 offset:1204 ; 4-byte Folded Reload
	buffer_load_dword a22, off, s[0:3], 0 offset:1208 ; 4-byte Folded Reload
	buffer_load_dword a23, off, s[0:3], 0 offset:1212 ; 4-byte Folded Reload
	buffer_load_dword a24, off, s[0:3], 0 offset:1216 ; 4-byte Folded Reload
	buffer_load_dword a25, off, s[0:3], 0 offset:1220 ; 4-byte Folded Reload
	buffer_load_dword a26, off, s[0:3], 0 offset:1224 ; 4-byte Folded Reload
	buffer_load_dword a27, off, s[0:3], 0 offset:1228 ; 4-byte Folded Reload
	buffer_load_dword a28, off, s[0:3], 0 offset:1232 ; 4-byte Folded Reload
	buffer_load_dword a29, off, s[0:3], 0 offset:1236 ; 4-byte Folded Reload
	buffer_load_dword a30, off, s[0:3], 0 offset:1240 ; 4-byte Folded Reload
	buffer_load_dword a31, off, s[0:3], 0 offset:1244 ; 4-byte Folded Reload
	v_cndmask_b32_e64 v17, v17, v62, s[36:37]
	;; [unrolled: 35-line block ×3, first 2 shown]
	v_cndmask_b32_e64 v30, v17, v38, s[42:43]
	v_cndmask_b32_e64 v17, v94, v92, s[8:9]
	;; [unrolled: 1-line block ×15, first 2 shown]
	s_waitcnt vmcnt(14)
	v_accvgpr_read_b32 v19, a17
	buffer_load_dword a0, off, s[0:3], 0 offset:992 ; 4-byte Folded Reload
	buffer_load_dword a1, off, s[0:3], 0 offset:996 ; 4-byte Folded Reload
	;; [unrolled: 1-line block ×32, first 2 shown]
	v_cndmask_b32_e64 v31, v13, v19, s[42:43]
	v_cndmask_b32_e64 v13, v95, v93, s[8:9]
	;; [unrolled: 1-line block ×9, first 2 shown]
	v_mul_f64 v[54:55], v[34:35], v[48:49]
	v_fmac_f64_e32 v[54:55], v[30:31], v[46:47]
	v_cndmask_b32_e64 v43, v19, v55, s[44:45]
	v_cndmask_b32_e64 v13, v251, v253, s[24:25]
	;; [unrolled: 1-line block ×11, first 2 shown]
	v_cndmask_b32_e32 v62, v50, v54, vcc
	v_cndmask_b32_e32 v63, v51, v55, vcc
	v_cndmask_b32_e64 v35, v38, v54, s[44:45]
	v_cndmask_b32_e64 v30, v64, v54, s[50:51]
	;; [unrolled: 1-line block ×5, first 2 shown]
	v_cmp_eq_u32_e64 s[24:25], 1, v37
	v_cmp_eq_u32_e64 s[26:27], 0, v37
	v_cndmask_b32_e64 v104, v249, v15, s[26:27]
	v_cmp_eq_u32_e64 s[30:31], 1, v21
	v_cmp_eq_u32_e64 s[36:37], 2, v21
	v_cndmask_b32_e64 v100, v32, v14, s[24:25]
	v_cndmask_b32_e64 v101, v248, v14, s[26:27]
	s_waitcnt vmcnt(16)
	v_accvgpr_read_b32 v71, a15
	buffer_load_dword a0, off, s[0:3], 0 offset:864 ; 4-byte Folded Reload
	buffer_load_dword a1, off, s[0:3], 0 offset:868 ; 4-byte Folded Reload
	;; [unrolled: 1-line block ×32, first 2 shown]
	v_cndmask_b32_e64 v13, v13, v71, s[38:39]
	s_waitcnt vmcnt(17)
	v_accvgpr_read_b32 v68, a14
	buffer_load_dword a0, off, s[0:3], 0 offset:736 ; 4-byte Folded Reload
	buffer_load_dword a1, off, s[0:3], 0 offset:740 ; 4-byte Folded Reload
	;; [unrolled: 1-line block ×32, first 2 shown]
	v_cndmask_b32_e64 v17, v17, v68, s[38:39]
	v_cmp_eq_u32_e64 s[38:39], 3, v21
	s_waitcnt vmcnt(14)
	v_accvgpr_read_b32 v19, a17
	buffer_load_dword a0, off, s[0:3], 0 offset:480 ; 4-byte Folded Reload
	buffer_load_dword a1, off, s[0:3], 0 offset:484 ; 4-byte Folded Reload
	;; [unrolled: 1-line block ×32, first 2 shown]
	v_cndmask_b32_e64 v51, v13, v19, s[42:43]
	v_cndmask_b32_e64 v13, v251, v253, s[8:9]
	;; [unrolled: 1-line block ×9, first 2 shown]
	v_mov_b32_e32 v13, 0
	v_lshl_add_u32 v16, v37, 2, v13
	s_waitcnt vmcnt(15)
	v_accvgpr_read_b32 v66, a16
	v_cndmask_b32_e64 v50, v17, v66, s[42:43]
	v_cndmask_b32_e64 v17, v250, v252, s[8:9]
	;; [unrolled: 1-line block ×9, first 2 shown]
	v_mul_f64 v[56:57], v[56:57], v[48:49]
	v_fmac_f64_e32 v[56:57], v[50:51], v[46:47]
	v_cndmask_b32_e64 v70, v19, v57, s[44:45]
	buffer_load_dword v19, v16, s[0:3], 0 offen
	v_cmp_eq_u32_e64 s[8:9], 2, v37
	v_cndmask_b32_e64 v50, v86, v52, s[8:9]
	v_cndmask_b32_e64 v86, v87, v53, s[8:9]
	;; [unrolled: 1-line block ×15, first 2 shown]
	v_cmp_eq_u32_e64 s[40:41], 4, v21
	v_cndmask_b32_e64 v16, v16, v98, s[40:41]
	v_cmp_eq_u32_e64 s[42:43], 5, v21
	v_cndmask_b32_e64 v66, v66, v56, s[44:45]
	v_cndmask_b32_e64 v16, v16, v85, s[42:43]
	v_cmp_eq_u32_e64 s[44:45], 6, v21
	v_cndmask_b32_e64 v67, v68, v56, s[46:47]
	v_cndmask_b32_e64 v71, v71, v57, s[46:47]
	;; [unrolled: 1-line block ×3, first 2 shown]
	v_cmp_eq_u32_e64 s[46:47], 7, v21
	v_cndmask_b32_e64 v68, v146, v56, s[48:49]
	v_cndmask_b32_e64 v88, v90, v54, s[8:9]
	v_cndmask_b32_e64 v89, v92, v54, s[24:25]
	v_cndmask_b32_e64 v54, v94, v54, s[26:27]
	v_cndmask_b32_e64 v90, v91, v55, s[8:9]
	v_cndmask_b32_e64 v92, v254, v56, s[8:9]
	v_cndmask_b32_e64 v94, v255, v57, s[8:9]
	v_cndmask_b32_e64 v97, v204, v14, s[8:9]
	v_cmp_eq_u32_e64 s[8:9], 1, v12
	v_cndmask_b32_e64 v16, v16, v83, s[46:47]
	v_cmp_eq_u32_e64 s[48:49], 8, v21
	v_cmp_eq_u32_e64 s[10:11], 2, v12
	;; [unrolled: 1-line block ×8, first 2 shown]
	v_cndmask_b32_e64 v12, v101, v100, s[8:9]
	v_cndmask_b32_e64 v17, v16, v82, s[48:49]
	;; [unrolled: 1-line block ×7, first 2 shown]
	v_cndmask_b32_e32 v95, v132, v14, vcc
	v_cndmask_b32_e64 v12, v12, v96, s[12:13]
	v_cndmask_b32_e64 v16, v16, v96, s[38:39]
	;; [unrolled: 1-line block ×12, first 2 shown]
	v_cndmask_b32_e32 v74, v74, v56, vcc
	v_cndmask_b32_e32 v75, v75, v57, vcc
	v_cndmask_b32_e64 v69, v110, v56, s[50:51]
	v_cndmask_b32_e64 v93, v252, v56, s[24:25]
	;; [unrolled: 1-line block ×5, first 2 shown]
	s_waitcnt vmcnt(0)
	v_lshl_add_u32 v13, v19, 2, v13
	buffer_load_dword v46, v13, s[0:3], 0 offen
	v_cndmask_b32_e64 v13, v104, v103, s[8:9]
	v_cndmask_b32_e64 v13, v13, v102, s[10:11]
	;; [unrolled: 1-line block ×8, first 2 shown]
	v_add_f64 v[14:15], -v[12:13], 0
	v_add_f64 v[32:33], v[16:17], -v[12:13]
	v_div_scale_f64 v[40:41], s[28:29], v[32:33], v[32:33], v[14:15]
	v_rcp_f64_e32 v[44:45], v[40:41]
	v_cmp_eq_u32_e64 s[24:25], 3, v19
	v_cmp_eq_u32_e64 s[26:27], 2, v19
	;; [unrolled: 1-line block ×4, first 2 shown]
	s_waitcnt vmcnt(0)
	buffer_store_dword v46, off, s[0:3], 0 offset:92
	v_fma_f64 v[46:47], -v[40:41], v[44:45], 1.0
	v_fmac_f64_e32 v[44:45], v[44:45], v[46:47]
	v_fma_f64 v[46:47], -v[40:41], v[44:45], 1.0
	v_fmac_f64_e32 v[44:45], v[44:45], v[46:47]
	v_div_scale_f64 v[46:47], vcc, v[14:15], v[32:33], v[14:15]
	v_mul_f64 v[48:49], v[46:47], v[44:45]
	v_fma_f64 v[40:41], -v[40:41], v[48:49], v[46:47]
	s_nop 1
	v_div_fmas_f64 v[40:41], v[40:41], v[44:45], v[48:49]
	v_div_fixup_f64 v[32:33], v[40:41], v[32:33], v[14:15]
	v_cndmask_b32_e64 v14, v53, v87, s[30:31]
	v_cndmask_b32_e64 v14, v14, v86, s[36:37]
	v_cndmask_b32_e64 v14, v14, v61, s[38:39]
	v_cndmask_b32_e64 v14, v14, v59, s[40:41]
	v_cndmask_b32_e64 v14, v14, v26, s[42:43]
	v_cndmask_b32_e64 v14, v14, v27, s[44:45]
	v_cndmask_b32_e64 v14, v14, v28, s[46:47]
	v_cndmask_b32_e64 v41, v14, v29, s[48:49]
	v_cndmask_b32_e64 v14, v52, v51, s[30:31]
	v_cndmask_b32_e64 v14, v14, v50, s[36:37]
	v_cndmask_b32_e64 v14, v14, v60, s[38:39]
	v_cndmask_b32_e64 v14, v14, v58, s[40:41]
	v_cndmask_b32_e64 v14, v14, v25, s[42:43]
	v_cndmask_b32_e64 v14, v14, v24, s[44:45]
	v_cndmask_b32_e64 v14, v14, v23, s[46:47]
	v_cndmask_b32_e64 v40, v14, v22, s[48:49]
	v_cndmask_b32_e64 v14, v53, v87, s[8:9]
	v_cndmask_b32_e64 v14, v14, v86, s[10:11]
	v_cndmask_b32_e64 v14, v14, v61, s[12:13]
	v_cndmask_b32_e64 v14, v14, v59, s[14:15]
	v_cndmask_b32_e64 v14, v14, v26, s[16:17]
	v_cndmask_b32_e64 v14, v14, v27, s[18:19]
	v_cndmask_b32_e64 v14, v14, v28, s[20:21]
	v_cndmask_b32_e64 v15, v14, v29, s[22:23]
	v_cndmask_b32_e64 v14, v52, v51, s[8:9]
	v_cndmask_b32_e64 v14, v14, v50, s[10:11]
	v_cndmask_b32_e64 v14, v14, v60, s[12:13]
	v_cndmask_b32_e64 v14, v14, v58, s[14:15]
	v_cndmask_b32_e64 v14, v14, v25, s[16:17]
	v_cndmask_b32_e64 v14, v14, v24, s[18:19]
	v_cndmask_b32_e64 v14, v14, v23, s[20:21]
	v_cndmask_b32_e64 v14, v14, v22, s[22:23]
	v_add_f64 v[44:45], -v[32:33], 1.0
	v_mul_f64 v[14:15], v[14:15], v[44:45]
	v_fmac_f64_e32 v[14:15], v[40:41], v[32:33]
	v_cmp_eq_u32_e32 vcc, 4, v19
	v_cndmask_b32_e32 v41, v59, v15, vcc
	v_cndmask_b32_e32 v40, v58, v14, vcc
	buffer_store_dword v32, off, s[0:3], 0 offset:96 ; 4-byte Folded Spill
	s_nop 0
	buffer_store_dword v33, off, s[0:3], 0 offset:100 ; 4-byte Folded Spill
	buffer_store_dword v34, off, s[0:3], 0 offset:104 ; 4-byte Folded Spill
	;; [unrolled: 1-line block ×31, first 2 shown]
	v_cndmask_b32_e64 v41, v61, v15, s[24:25]
	v_cndmask_b32_e64 v40, v60, v14, s[24:25]
	buffer_store_dword v34, off, s[0:3], 0 offset:224 ; 4-byte Folded Spill
	s_nop 0
	buffer_store_dword v35, off, s[0:3], 0 offset:228 ; 4-byte Folded Spill
	buffer_store_dword v36, off, s[0:3], 0 offset:232 ; 4-byte Folded Spill
	;; [unrolled: 1-line block ×31, first 2 shown]
	v_cndmask_b32_e64 v41, v86, v15, s[26:27]
	v_cndmask_b32_e64 v40, v50, v14, s[26:27]
	v_accvgpr_write_b32 a251, v41
	v_accvgpr_write_b32 a250, v40
	v_cndmask_b32_e64 v41, v87, v15, s[28:29]
	v_cndmask_b32_e64 v40, v51, v14, s[28:29]
	v_accvgpr_write_b32 a255, v41
	v_cndmask_b32_e64 v46, v55, v91, s[8:9]
	v_accvgpr_write_b32 a254, v40
	v_cndmask_b32_e64 v40, v55, v91, s[30:31]
	v_cndmask_b32_e64 v46, v46, v90, s[10:11]
	;; [unrolled: 1-line block ×31, first 2 shown]
	v_mul_f64 v[46:47], v[46:47], v[44:45]
	v_cndmask_b32_e64 v48, v57, v105, s[8:9]
	v_fmac_f64_e32 v[46:47], v[40:41], v[32:33]
	v_cndmask_b32_e64 v40, v57, v105, s[30:31]
	v_cndmask_b32_e64 v48, v48, v94, s[10:11]
	;; [unrolled: 1-line block ×31, first 2 shown]
	v_mul_f64 v[48:49], v[48:49], v[44:45]
	v_mul_f64 v[44:45], v[12:13], v[44:45]
	v_cndmask_b32_e32 v13, v63, v47, vcc
	v_cndmask_b32_e32 v12, v62, v46, vcc
	v_cndmask_b32_e64 v53, v53, v15, s[34:35]
	v_cndmask_b32_e64 v52, v52, v14, s[34:35]
	v_fmac_f64_e32 v[48:49], v[40:41], v[32:33]
	v_fmac_f64_e32 v[44:45], v[16:17], v[32:33]
	buffer_store_dword v4, off, s[0:3], 0 offset:608 ; 4-byte Folded Spill
	s_nop 0
	buffer_store_dword v5, off, s[0:3], 0 offset:612 ; 4-byte Folded Spill
	buffer_store_dword v6, off, s[0:3], 0 offset:616 ; 4-byte Folded Spill
	buffer_store_dword v7, off, s[0:3], 0 offset:620 ; 4-byte Folded Spill
	buffer_store_dword v8, off, s[0:3], 0 offset:624 ; 4-byte Folded Spill
	buffer_store_dword v9, off, s[0:3], 0 offset:628 ; 4-byte Folded Spill
	buffer_store_dword v10, off, s[0:3], 0 offset:632 ; 4-byte Folded Spill
	buffer_store_dword v11, off, s[0:3], 0 offset:636 ; 4-byte Folded Spill
	buffer_store_dword v12, off, s[0:3], 0 offset:640 ; 4-byte Folded Spill
	buffer_store_dword v13, off, s[0:3], 0 offset:644 ; 4-byte Folded Spill
	buffer_store_dword v14, off, s[0:3], 0 offset:648 ; 4-byte Folded Spill
	buffer_store_dword v15, off, s[0:3], 0 offset:652 ; 4-byte Folded Spill
	buffer_store_dword v16, off, s[0:3], 0 offset:656 ; 4-byte Folded Spill
	buffer_store_dword v17, off, s[0:3], 0 offset:660 ; 4-byte Folded Spill
	buffer_store_dword v18, off, s[0:3], 0 offset:664 ; 4-byte Folded Spill
	buffer_store_dword v19, off, s[0:3], 0 offset:668 ; 4-byte Folded Spill
	buffer_store_dword v20, off, s[0:3], 0 offset:672 ; 4-byte Folded Spill
	buffer_store_dword v21, off, s[0:3], 0 offset:676 ; 4-byte Folded Spill
	buffer_store_dword v22, off, s[0:3], 0 offset:680 ; 4-byte Folded Spill
	buffer_store_dword v23, off, s[0:3], 0 offset:684 ; 4-byte Folded Spill
	buffer_store_dword v24, off, s[0:3], 0 offset:688 ; 4-byte Folded Spill
	buffer_store_dword v25, off, s[0:3], 0 offset:692 ; 4-byte Folded Spill
	buffer_store_dword v26, off, s[0:3], 0 offset:696 ; 4-byte Folded Spill
	buffer_store_dword v27, off, s[0:3], 0 offset:700 ; 4-byte Folded Spill
	buffer_store_dword v28, off, s[0:3], 0 offset:704 ; 4-byte Folded Spill
	buffer_store_dword v29, off, s[0:3], 0 offset:708 ; 4-byte Folded Spill
	buffer_store_dword v30, off, s[0:3], 0 offset:712 ; 4-byte Folded Spill
	buffer_store_dword v31, off, s[0:3], 0 offset:716 ; 4-byte Folded Spill
	buffer_store_dword v32, off, s[0:3], 0 offset:720 ; 4-byte Folded Spill
	buffer_store_dword v33, off, s[0:3], 0 offset:724 ; 4-byte Folded Spill
	buffer_store_dword v34, off, s[0:3], 0 offset:728 ; 4-byte Folded Spill
	buffer_store_dword v35, off, s[0:3], 0 offset:732 ; 4-byte Folded Spill
	v_cndmask_b32_e64 v13, v65, v47, s[24:25]
	v_cndmask_b32_e64 v12, v64, v46, s[24:25]
	buffer_store_dword v6, off, s[0:3], 0 offset:352 ; 4-byte Folded Spill
	s_nop 0
	buffer_store_dword v7, off, s[0:3], 0 offset:356 ; 4-byte Folded Spill
	buffer_store_dword v8, off, s[0:3], 0 offset:360 ; 4-byte Folded Spill
	;; [unrolled: 1-line block ×31, first 2 shown]
	v_cndmask_b32_e64 v17, v90, v47, s[26:27]
	v_cndmask_b32_e64 v16, v88, v46, s[26:27]
	;; [unrolled: 1-line block ×4, first 2 shown]
	v_cndmask_b32_e32 v75, v75, v49, vcc
	v_cndmask_b32_e32 v74, v74, v48, vcc
	;; [unrolled: 1-line block ×4, first 2 shown]
	v_cndmask_b32_e64 v59, v91, v47, s[28:29]
	v_cndmask_b32_e64 v58, v89, v46, s[28:29]
	;; [unrolled: 1-line block ×18, first 2 shown]
	v_pk_mov_b32 v[102:103], v[52:53], v[52:53] op_sel:[0,1]
	v_cmp_eq_u32_e64 s[12:13], 8, v19
	v_mov_b32_e32 v13, v37
	v_cndmask_b32_e64 v29, v29, v15, s[12:13]
	v_cndmask_b32_e64 v22, v22, v14, s[12:13]
	v_cmp_eq_u32_e32 vcc, 7, v19
	v_cmp_eq_u32_e64 s[8:9], 6, v19
	v_cmp_eq_u32_e64 s[10:11], 5, v19
	v_accvgpr_write_b32 a205, v29
	buffer_store_dword v6, off, s[0:3], 0 offset:1760 ; 4-byte Folded Spill
	s_nop 0
	buffer_store_dword v7, off, s[0:3], 0 offset:1764 ; 4-byte Folded Spill
	buffer_store_dword v8, off, s[0:3], 0 offset:1768 ; 4-byte Folded Spill
	;; [unrolled: 1-line block ×31, first 2 shown]
	v_cndmask_b32_e64 v146, v68, v48, s[8:9]
	v_cndmask_b32_e64 v110, v69, v48, s[10:11]
	v_cndmask_b32_e32 v170, v79, v44, vcc
	v_cndmask_b32_e64 v184, v80, v44, s[8:9]
	v_cndmask_b32_e64 v226, v81, v44, s[10:11]
	v_cndmask_b32_e32 v29, v28, v15, vcc
	v_accvgpr_write_b32 a169, v29
	v_pk_mov_b32 v[28:29], v[16:17], v[16:17] op_sel:[0,1]
	v_cndmask_b32_e32 v16, v23, v14, vcc
	buffer_store_dword v2, off, s[0:3], 0 offset:1888 ; 4-byte Folded Spill
	s_nop 0
	buffer_store_dword v3, off, s[0:3], 0 offset:1892 ; 4-byte Folded Spill
	buffer_store_dword v4, off, s[0:3], 0 offset:1896 ; 4-byte Folded Spill
	;; [unrolled: 1-line block ×31, first 2 shown]
	v_cndmask_b32_e64 v17, v27, v15, s[8:9]
	v_cndmask_b32_e64 v12, v24, v14, s[8:9]
	v_accvgpr_write_b32 a117, v17
	buffer_store_dword v0, off, s[0:3], 0 offset:2016 ; 4-byte Folded Spill
	s_nop 0
	buffer_store_dword v1, off, s[0:3], 0 offset:2020 ; 4-byte Folded Spill
	buffer_store_dword v2, off, s[0:3], 0 offset:2024 ; 4-byte Folded Spill
	;; [unrolled: 1-line block ×31, first 2 shown]
	v_cndmask_b32_e64 v15, v26, v15, s[10:11]
	v_pk_mov_b32 v[26:27], v[58:59], v[58:59] op_sel:[0,1]
	v_cndmask_b32_e64 v12, v25, v14, s[10:11]
	v_accvgpr_write_b32 a217, v15
	buffer_store_dword v2, off, s[0:3], 0 offset:2144 ; 4-byte Folded Spill
	s_nop 0
	buffer_store_dword v3, off, s[0:3], 0 offset:2148 ; 4-byte Folded Spill
	buffer_store_dword v4, off, s[0:3], 0 offset:2152 ; 4-byte Folded Spill
	;; [unrolled: 1-line block ×31, first 2 shown]
	v_pk_mov_b32 v[24:25], v[54:55], v[54:55] op_sel:[0,1]
	v_cndmask_b32_e64 v17, v43, v47, s[12:13]
	buffer_store_dword v0, off, s[0:3], 0 offset:1248 ; 4-byte Folded Spill
	s_nop 0
	buffer_store_dword v1, off, s[0:3], 0 offset:1252 ; 4-byte Folded Spill
	buffer_store_dword v2, off, s[0:3], 0 offset:1256 ; 4-byte Folded Spill
	;; [unrolled: 1-line block ×31, first 2 shown]
	v_cndmask_b32_e64 v16, v35, v46, s[12:13]
	v_cndmask_b32_e32 v15, v42, v47, vcc
	v_accvgpr_write_b32 a58, v16
	buffer_store_dword v0, off, s[0:3], 0 offset:1632 ; 4-byte Folded Spill
	s_nop 0
	buffer_store_dword v1, off, s[0:3], 0 offset:1636 ; 4-byte Folded Spill
	buffer_store_dword v2, off, s[0:3], 0 offset:1640 ; 4-byte Folded Spill
	;; [unrolled: 1-line block ×31, first 2 shown]
	v_cndmask_b32_e32 v14, v34, v46, vcc
	buffer_store_dword v0, off, s[0:3], 0 offset:1120 ; 4-byte Folded Spill
	s_nop 0
	buffer_store_dword v1, off, s[0:3], 0 offset:1124 ; 4-byte Folded Spill
	buffer_store_dword v2, off, s[0:3], 0 offset:1128 ; 4-byte Folded Spill
	;; [unrolled: 1-line block ×31, first 2 shown]
	v_cndmask_b32_e64 v15, v39, v47, s[8:9]
	v_accvgpr_write_b32 a13, v15
	v_cndmask_b32_e64 v12, v31, v46, s[8:9]
	buffer_store_dword v0, off, s[0:3], 0 offset:1376 ; 4-byte Folded Spill
	s_nop 0
	buffer_store_dword v1, off, s[0:3], 0 offset:1380 ; 4-byte Folded Spill
	buffer_store_dword v2, off, s[0:3], 0 offset:1384 ; 4-byte Folded Spill
	;; [unrolled: 1-line block ×31, first 2 shown]
	v_cndmask_b32_e64 v15, v38, v47, s[10:11]
	v_accvgpr_write_b32 a25, v15
	v_cndmask_b32_e64 v12, v30, v46, s[10:11]
	buffer_store_dword v2, off, s[0:3], 0 offset:1504 ; 4-byte Folded Spill
	s_nop 0
	buffer_store_dword v3, off, s[0:3], 0 offset:1508 ; 4-byte Folded Spill
	buffer_store_dword v4, off, s[0:3], 0 offset:1512 ; 4-byte Folded Spill
	buffer_store_dword v5, off, s[0:3], 0 offset:1516 ; 4-byte Folded Spill
	buffer_store_dword v6, off, s[0:3], 0 offset:1520 ; 4-byte Folded Spill
	buffer_store_dword v7, off, s[0:3], 0 offset:1524 ; 4-byte Folded Spill
	buffer_store_dword v8, off, s[0:3], 0 offset:1528 ; 4-byte Folded Spill
	buffer_store_dword v9, off, s[0:3], 0 offset:1532 ; 4-byte Folded Spill
	buffer_store_dword v10, off, s[0:3], 0 offset:1536 ; 4-byte Folded Spill
	buffer_store_dword v11, off, s[0:3], 0 offset:1540 ; 4-byte Folded Spill
	buffer_store_dword v12, off, s[0:3], 0 offset:1544 ; 4-byte Folded Spill
	buffer_store_dword v13, off, s[0:3], 0 offset:1548 ; 4-byte Folded Spill
	buffer_store_dword v14, off, s[0:3], 0 offset:1552 ; 4-byte Folded Spill
	buffer_store_dword v15, off, s[0:3], 0 offset:1556 ; 4-byte Folded Spill
	buffer_store_dword v16, off, s[0:3], 0 offset:1560 ; 4-byte Folded Spill
	buffer_store_dword v17, off, s[0:3], 0 offset:1564 ; 4-byte Folded Spill
	buffer_store_dword v18, off, s[0:3], 0 offset:1568 ; 4-byte Folded Spill
	buffer_store_dword v19, off, s[0:3], 0 offset:1572 ; 4-byte Folded Spill
	buffer_store_dword v20, off, s[0:3], 0 offset:1576 ; 4-byte Folded Spill
	buffer_store_dword v21, off, s[0:3], 0 offset:1580 ; 4-byte Folded Spill
	buffer_store_dword v22, off, s[0:3], 0 offset:1584 ; 4-byte Folded Spill
	buffer_store_dword v23, off, s[0:3], 0 offset:1588 ; 4-byte Folded Spill
	buffer_store_dword v24, off, s[0:3], 0 offset:1592 ; 4-byte Folded Spill
	buffer_store_dword v25, off, s[0:3], 0 offset:1596 ; 4-byte Folded Spill
	buffer_store_dword v26, off, s[0:3], 0 offset:1600 ; 4-byte Folded Spill
	buffer_store_dword v27, off, s[0:3], 0 offset:1604 ; 4-byte Folded Spill
	buffer_store_dword v28, off, s[0:3], 0 offset:1608 ; 4-byte Folded Spill
	buffer_store_dword v29, off, s[0:3], 0 offset:1612 ; 4-byte Folded Spill
	buffer_store_dword v30, off, s[0:3], 0 offset:1616 ; 4-byte Folded Spill
	buffer_store_dword v31, off, s[0:3], 0 offset:1620 ; 4-byte Folded Spill
	buffer_store_dword v32, off, s[0:3], 0 offset:1624 ; 4-byte Folded Spill
	buffer_store_dword v33, off, s[0:3], 0 offset:1628 ; 4-byte Folded Spill
	v_cndmask_b32_e64 v17, v70, v49, s[12:13]
	buffer_store_dword v0, off, s[0:3], 0 offset:736 ; 4-byte Folded Spill
	s_nop 0
	buffer_store_dword v1, off, s[0:3], 0 offset:740 ; 4-byte Folded Spill
	buffer_store_dword v2, off, s[0:3], 0 offset:744 ; 4-byte Folded Spill
	buffer_store_dword v3, off, s[0:3], 0 offset:748 ; 4-byte Folded Spill
	buffer_store_dword v4, off, s[0:3], 0 offset:752 ; 4-byte Folded Spill
	buffer_store_dword v5, off, s[0:3], 0 offset:756 ; 4-byte Folded Spill
	buffer_store_dword v6, off, s[0:3], 0 offset:760 ; 4-byte Folded Spill
	buffer_store_dword v7, off, s[0:3], 0 offset:764 ; 4-byte Folded Spill
	buffer_store_dword v8, off, s[0:3], 0 offset:768 ; 4-byte Folded Spill
	buffer_store_dword v9, off, s[0:3], 0 offset:772 ; 4-byte Folded Spill
	buffer_store_dword v10, off, s[0:3], 0 offset:776 ; 4-byte Folded Spill
	buffer_store_dword v11, off, s[0:3], 0 offset:780 ; 4-byte Folded Spill
	buffer_store_dword v12, off, s[0:3], 0 offset:784 ; 4-byte Folded Spill
	buffer_store_dword v13, off, s[0:3], 0 offset:788 ; 4-byte Folded Spill
	buffer_store_dword v14, off, s[0:3], 0 offset:792 ; 4-byte Folded Spill
	buffer_store_dword v15, off, s[0:3], 0 offset:796 ; 4-byte Folded Spill
	buffer_store_dword v16, off, s[0:3], 0 offset:800 ; 4-byte Folded Spill
	buffer_store_dword v17, off, s[0:3], 0 offset:804 ; 4-byte Folded Spill
	buffer_store_dword v18, off, s[0:3], 0 offset:808 ; 4-byte Folded Spill
	buffer_store_dword v19, off, s[0:3], 0 offset:812 ; 4-byte Folded Spill
	buffer_store_dword v20, off, s[0:3], 0 offset:816 ; 4-byte Folded Spill
	buffer_store_dword v21, off, s[0:3], 0 offset:820 ; 4-byte Folded Spill
	buffer_store_dword v22, off, s[0:3], 0 offset:824 ; 4-byte Folded Spill
	buffer_store_dword v23, off, s[0:3], 0 offset:828 ; 4-byte Folded Spill
	buffer_store_dword v24, off, s[0:3], 0 offset:832 ; 4-byte Folded Spill
	buffer_store_dword v25, off, s[0:3], 0 offset:836 ; 4-byte Folded Spill
	buffer_store_dword v26, off, s[0:3], 0 offset:840 ; 4-byte Folded Spill
	buffer_store_dword v27, off, s[0:3], 0 offset:844 ; 4-byte Folded Spill
	buffer_store_dword v28, off, s[0:3], 0 offset:848 ; 4-byte Folded Spill
	buffer_store_dword v29, off, s[0:3], 0 offset:852 ; 4-byte Folded Spill
	buffer_store_dword v30, off, s[0:3], 0 offset:856 ; 4-byte Folded Spill
	buffer_store_dword v31, off, s[0:3], 0 offset:860 ; 4-byte Folded Spill
	;; [unrolled: 34-line block ×3, first 2 shown]
	v_cndmask_b32_e32 v15, v71, v49, vcc
	buffer_store_dword v0, off, s[0:3], 0 offset:992 ; 4-byte Folded Spill
	s_nop 0
	buffer_store_dword v1, off, s[0:3], 0 offset:996 ; 4-byte Folded Spill
	buffer_store_dword v2, off, s[0:3], 0 offset:1000 ; 4-byte Folded Spill
	;; [unrolled: 1-line block ×31, first 2 shown]
	v_cndmask_b32_e32 v14, v67, v48, vcc
	buffer_store_dword v0, off, s[0:3], 0 offset:864 ; 4-byte Folded Spill
	s_nop 0
	buffer_store_dword v1, off, s[0:3], 0 offset:868 ; 4-byte Folded Spill
	buffer_store_dword v2, off, s[0:3], 0 offset:872 ; 4-byte Folded Spill
	buffer_store_dword v3, off, s[0:3], 0 offset:876 ; 4-byte Folded Spill
	buffer_store_dword v4, off, s[0:3], 0 offset:880 ; 4-byte Folded Spill
	buffer_store_dword v5, off, s[0:3], 0 offset:884 ; 4-byte Folded Spill
	buffer_store_dword v6, off, s[0:3], 0 offset:888 ; 4-byte Folded Spill
	buffer_store_dword v7, off, s[0:3], 0 offset:892 ; 4-byte Folded Spill
	buffer_store_dword v8, off, s[0:3], 0 offset:896 ; 4-byte Folded Spill
	buffer_store_dword v9, off, s[0:3], 0 offset:900 ; 4-byte Folded Spill
	buffer_store_dword v10, off, s[0:3], 0 offset:904 ; 4-byte Folded Spill
	buffer_store_dword v11, off, s[0:3], 0 offset:908 ; 4-byte Folded Spill
	buffer_store_dword v12, off, s[0:3], 0 offset:912 ; 4-byte Folded Spill
	buffer_store_dword v13, off, s[0:3], 0 offset:916 ; 4-byte Folded Spill
	buffer_store_dword v14, off, s[0:3], 0 offset:920 ; 4-byte Folded Spill
	buffer_store_dword v15, off, s[0:3], 0 offset:924 ; 4-byte Folded Spill
	buffer_store_dword v16, off, s[0:3], 0 offset:928 ; 4-byte Folded Spill
	buffer_store_dword v17, off, s[0:3], 0 offset:932 ; 4-byte Folded Spill
	buffer_store_dword v18, off, s[0:3], 0 offset:936 ; 4-byte Folded Spill
	buffer_store_dword v19, off, s[0:3], 0 offset:940 ; 4-byte Folded Spill
	buffer_store_dword v20, off, s[0:3], 0 offset:944 ; 4-byte Folded Spill
	buffer_store_dword v21, off, s[0:3], 0 offset:948 ; 4-byte Folded Spill
	buffer_store_dword v22, off, s[0:3], 0 offset:952 ; 4-byte Folded Spill
	buffer_store_dword v23, off, s[0:3], 0 offset:956 ; 4-byte Folded Spill
	buffer_store_dword v24, off, s[0:3], 0 offset:960 ; 4-byte Folded Spill
	buffer_store_dword v25, off, s[0:3], 0 offset:964 ; 4-byte Folded Spill
	buffer_store_dword v26, off, s[0:3], 0 offset:968 ; 4-byte Folded Spill
	buffer_store_dword v27, off, s[0:3], 0 offset:972 ; 4-byte Folded Spill
	buffer_store_dword v28, off, s[0:3], 0 offset:976 ; 4-byte Folded Spill
	buffer_store_dword v29, off, s[0:3], 0 offset:980 ; 4-byte Folded Spill
	buffer_store_dword v30, off, s[0:3], 0 offset:984 ; 4-byte Folded Spill
	buffer_store_dword v31, off, s[0:3], 0 offset:988 ; 4-byte Folded Spill
	v_cndmask_b32_e64 v15, v72, v49, s[8:9]
	v_accvgpr_write_b32 a141, v15
	v_cndmask_b32_e64 v15, v73, v49, s[10:11]
	v_accvgpr_write_b32 a153, v15
	v_cndmask_b32_e32 v15, v83, v45, vcc
	v_accvgpr_write_b32 a91, v15
	v_cndmask_b32_e64 v15, v84, v45, s[8:9]
	v_cndmask_b32_e64 v17, v82, v45, s[12:13]
	v_accvgpr_write_b32 a187, v15
	v_cndmask_b32_e64 v15, v85, v45, s[10:11]
	v_accvgpr_write_b32 a75, v17
	;; [unrolled: 2-line block ×3, first 2 shown]
.LBB2_106:
	s_or_b64 exec, exec, s[56:57]
	buffer_store_dword v18, off, s[0:3], 0 offset:88
	s_and_saveexec_b64 s[18:19], s[4:5]
	s_cbranch_execz .LBB2_115
; %bb.107:
	s_mov_b64 s[20:21], 0
	v_mov_b32_e32 v12, 0
	s_branch .LBB2_109
.LBB2_108:                              ;   in Loop: Header=BB2_109 Depth=1
	s_or_b64 exec, exec, s[8:9]
	s_waitcnt vmcnt(0)
	v_cmp_gt_i32_e32 vcc, 0, v14
	s_or_b64 s[20:21], vcc, s[20:21]
	v_mov_b32_e32 v36, v14
	s_andn2_b64 exec, exec, s[20:21]
	s_cbranch_execz .LBB2_115
.LBB2_109:                              ; =>This Inner Loop Header: Depth=1
	v_cmp_eq_u32_e32 vcc, 1, v36
	v_cndmask_b32_e32 v14, v249, v33, vcc
	v_cmp_eq_u32_e64 s[4:5], 2, v36
	v_cndmask_b32_e64 v14, v14, v205, s[4:5]
	v_cmp_eq_u32_e64 s[8:9], 3, v36
	v_cndmask_b32_e64 v14, v14, v99, s[8:9]
	;; [unrolled: 2-line block ×3, first 2 shown]
	v_cmp_eq_u32_e64 s[12:13], 5, v36
	v_accvgpr_read_b32 v15, a103
	v_cndmask_b32_e64 v14, v14, v15, s[12:13]
	v_cmp_eq_u32_e64 s[14:15], 6, v36
	v_accvgpr_read_b32 v15, a187
	v_cndmask_b32_e64 v14, v14, v15, s[14:15]
	;; [unrolled: 3-line block ×3, first 2 shown]
	v_cndmask_b32_e32 v15, v248, v32, vcc
	v_cndmask_b32_e64 v15, v15, v204, s[4:5]
	v_cndmask_b32_e64 v15, v15, v98, s[8:9]
	;; [unrolled: 1-line block ×6, first 2 shown]
	v_cmp_eq_u32_e32 vcc, 8, v36
	v_accvgpr_read_b32 v23, a75
	v_cndmask_b32_e32 v15, v14, v23, vcc
	v_cndmask_b32_e32 v14, v17, v16, vcc
	v_lshl_add_u32 v17, v36, 2, v12
	v_cmp_ngt_f64_e32 vcc, 0, v[14:15]
	buffer_load_dword v14, v17, s[0:3], 0 offen
	s_mov_b64 s[4:5], 0
                                        ; implicit-def: $vgpr15
	s_and_saveexec_b64 s[8:9], vcc
	s_xor_b64 s[8:9], exec, s[8:9]
	s_cbranch_execnz .LBB2_112
; %bb.110:                              ;   in Loop: Header=BB2_109 Depth=1
	s_andn2_saveexec_b64 s[8:9], s[8:9]
	s_cbranch_execnz .LBB2_113
.LBB2_111:                              ;   in Loop: Header=BB2_109 Depth=1
	s_or_b64 exec, exec, s[8:9]
	s_and_saveexec_b64 s[8:9], s[4:5]
	s_cbranch_execz .LBB2_108
	s_branch .LBB2_114
.LBB2_112:                              ;   in Loop: Header=BB2_109 Depth=1
	buffer_load_dword v15, off, s[0:3], 0 offset:88
                                        ; implicit-def: $vgpr17
	s_waitcnt vmcnt(0)
	v_cmp_eq_u32_e32 vcc, -1, v15
	v_mov_b32_e32 v15, 0x58
	s_and_b64 s[4:5], vcc, exec
	s_andn2_saveexec_b64 s[8:9], s[8:9]
	s_cbranch_execz .LBB2_111
.LBB2_113:                              ;   in Loop: Header=BB2_109 Depth=1
	buffer_load_dword v18, off, s[0:3], 0 offset:92
	v_mov_b32_e32 v15, 0x5c
	s_or_b64 s[4:5], s[4:5], exec
	s_waitcnt vmcnt(0)
	buffer_store_dword v18, v17, s[0:3], 0 offen
	s_or_b64 exec, exec, s[8:9]
	s_and_saveexec_b64 s[8:9], s[4:5]
	s_cbranch_execz .LBB2_108
.LBB2_114:                              ;   in Loop: Header=BB2_109 Depth=1
	buffer_store_dword v36, v15, s[0:3], 0 offen
	s_branch .LBB2_108
.LBB2_115:
	s_or_b64 exec, exec, s[18:19]
	s_and_saveexec_b64 s[4:5], s[6:7]
	s_cbranch_execz .LBB2_117
; %bb.116:
	v_max_f64 v[8:9], v[8:9], v[8:9]
	v_max_f64 v[10:11], v[10:11], v[10:11]
	v_mov_b32_e32 v12, 0
	v_min_f64 v[8:9], v[10:11], v[8:9]
	v_cmp_ngt_f64_e32 vcc, 0, v[8:9]
	v_lshl_add_u32 v10, v20, 2, v12
	v_lshl_add_u32 v14, v19, 2, v12
	v_cndmask_b32_e32 v8, -1, v21, vcc
	v_lshl_add_u32 v9, v13, 2, v12
	buffer_store_dword v13, v10, s[0:3], 0 offen
	buffer_store_dword v19, v9, s[0:3], 0 offen
	;; [unrolled: 1-line block ×3, first 2 shown]
.LBB2_117:
	s_or_b64 exec, exec, s[4:5]
	buffer_load_dword v8, off, s[0:3], 0 offset:88
	s_waitcnt vmcnt(0)
	v_cmp_lt_i32_e32 vcc, -1, v8
	s_and_saveexec_b64 s[20:21], vcc
	s_cbranch_execz .LBB2_121
; %bb.118:
	buffer_load_dword v112, off, s[0:3], 0 offset:224 ; 4-byte Folded Reload
	buffer_load_dword v113, off, s[0:3], 0 offset:228 ; 4-byte Folded Reload
	;; [unrolled: 1-line block ×32, first 2 shown]
	v_accvgpr_read_b32 v16, a250
	v_accvgpr_read_b32 v18, a254
	s_mov_b64 s[22:23], 0
	v_mov_b32_e32 v9, 0
	v_mov_b32_e32 v10, v8
	v_accvgpr_read_b32 v17, a251
	v_accvgpr_read_b32 v19, a255
	;; [unrolled: 1-line block ×5, first 2 shown]
	s_waitcnt vmcnt(24)
	v_pk_mov_b32 v[20:21], v[118:119], v[118:119] op_sel:[0,1]
	buffer_load_dword v112, off, s[0:3], 0 offset:96 ; 4-byte Folded Reload
	buffer_load_dword v113, off, s[0:3], 0 offset:100 ; 4-byte Folded Reload
	buffer_load_dword v114, off, s[0:3], 0 offset:104 ; 4-byte Folded Reload
	buffer_load_dword v115, off, s[0:3], 0 offset:108 ; 4-byte Folded Reload
	buffer_load_dword v116, off, s[0:3], 0 offset:112 ; 4-byte Folded Reload
	buffer_load_dword v117, off, s[0:3], 0 offset:116 ; 4-byte Folded Reload
	buffer_load_dword v118, off, s[0:3], 0 offset:120 ; 4-byte Folded Reload
	buffer_load_dword v119, off, s[0:3], 0 offset:124 ; 4-byte Folded Reload
	buffer_load_dword v120, off, s[0:3], 0 offset:128 ; 4-byte Folded Reload
	buffer_load_dword v121, off, s[0:3], 0 offset:132 ; 4-byte Folded Reload
	buffer_load_dword v122, off, s[0:3], 0 offset:136 ; 4-byte Folded Reload
	buffer_load_dword v123, off, s[0:3], 0 offset:140 ; 4-byte Folded Reload
	buffer_load_dword v124, off, s[0:3], 0 offset:144 ; 4-byte Folded Reload
	buffer_load_dword v125, off, s[0:3], 0 offset:148 ; 4-byte Folded Reload
	buffer_load_dword v126, off, s[0:3], 0 offset:152 ; 4-byte Folded Reload
	buffer_load_dword v127, off, s[0:3], 0 offset:156 ; 4-byte Folded Reload
	buffer_load_dword v128, off, s[0:3], 0 offset:160 ; 4-byte Folded Reload
	buffer_load_dword v129, off, s[0:3], 0 offset:164 ; 4-byte Folded Reload
	buffer_load_dword v130, off, s[0:3], 0 offset:168 ; 4-byte Folded Reload
	buffer_load_dword v131, off, s[0:3], 0 offset:172 ; 4-byte Folded Reload
	buffer_load_dword v132, off, s[0:3], 0 offset:176 ; 4-byte Folded Reload
	buffer_load_dword v133, off, s[0:3], 0 offset:180 ; 4-byte Folded Reload
	buffer_load_dword v134, off, s[0:3], 0 offset:184 ; 4-byte Folded Reload
	buffer_load_dword v135, off, s[0:3], 0 offset:188 ; 4-byte Folded Reload
	buffer_load_dword v136, off, s[0:3], 0 offset:192 ; 4-byte Folded Reload
	buffer_load_dword v137, off, s[0:3], 0 offset:196 ; 4-byte Folded Reload
	buffer_load_dword v138, off, s[0:3], 0 offset:200 ; 4-byte Folded Reload
	buffer_load_dword v139, off, s[0:3], 0 offset:204 ; 4-byte Folded Reload
	buffer_load_dword v140, off, s[0:3], 0 offset:208 ; 4-byte Folded Reload
	buffer_load_dword v141, off, s[0:3], 0 offset:212 ; 4-byte Folded Reload
	buffer_load_dword v142, off, s[0:3], 0 offset:216 ; 4-byte Folded Reload
	buffer_load_dword v143, off, s[0:3], 0 offset:220 ; 4-byte Folded Reload
	s_waitcnt vmcnt(22)
	v_pk_mov_b32 v[22:23], v[120:121], v[120:121] op_sel:[0,1]
	buffer_load_dword v112, off, s[0:3], 0 offset:352 ; 4-byte Folded Reload
	buffer_load_dword v113, off, s[0:3], 0 offset:356 ; 4-byte Folded Reload
	;; [unrolled: 1-line block ×64, first 2 shown]
	s_waitcnt vmcnt(56)
	v_pk_mov_b32 v[30:31], v[118:119], v[118:119] op_sel:[0,1]
	s_waitcnt vmcnt(14)
	v_mov_b32_e32 v33, v59
	buffer_load_dword v42, off, s[0:3], 0 offset:992 ; 4-byte Folded Reload
	buffer_load_dword v43, off, s[0:3], 0 offset:996 ; 4-byte Folded Reload
	;; [unrolled: 1-line block ×64, first 2 shown]
	s_waitcnt vmcnt(48)
	v_mov_b32_e32 v35, v57
	buffer_load_dword v42, off, s[0:3], 0 offset:864 ; 4-byte Folded Reload
	buffer_load_dword v43, off, s[0:3], 0 offset:868 ; 4-byte Folded Reload
	;; [unrolled: 1-line block ×32, first 2 shown]
	s_waitcnt vmcnt(47)
	v_mov_b32_e32 v32, v128
	s_waitcnt vmcnt(17)
	v_mov_b32_e32 v34, v56
	buffer_load_dword v42, off, s[0:3], 0 offset:1248 ; 4-byte Folded Reload
	buffer_load_dword v43, off, s[0:3], 0 offset:1252 ; 4-byte Folded Reload
	;; [unrolled: 1-line block ×64, first 2 shown]
	s_waitcnt vmcnt(58)
	v_accvgpr_read_b32 v47, a13
	s_waitcnt vmcnt(56)
	v_accvgpr_read_b32 v49, a25
	;; [unrolled: 2-line block ×5, first 2 shown]
	s_waitcnt vmcnt(46)
	v_mov_b32_e32 v43, v59
	s_waitcnt vmcnt(16)
	v_mov_b32_e32 v45, v127
	buffer_load_dword v112, off, s[0:3], 0 offset:1120 ; 4-byte Folded Reload
	buffer_load_dword v113, off, s[0:3], 0 offset:1124 ; 4-byte Folded Reload
	;; [unrolled: 1-line block ×32, first 2 shown]
	v_accvgpr_read_b32 v59, a217
	s_waitcnt vmcnt(17)
	v_mov_b32_e32 v38, v126
	buffer_load_dword v112, off, s[0:3], 0 offset:608 ; 4-byte Folded Reload
	buffer_load_dword v113, off, s[0:3], 0 offset:612 ; 4-byte Folded Reload
	;; [unrolled: 1-line block ×32, first 2 shown]
	s_waitcnt vmcnt(22)
	v_pk_mov_b32 v[50:51], v[120:121], v[120:121] op_sel:[0,1]
	buffer_load_dword v112, off, s[0:3], 0 offset:1376 ; 4-byte Folded Reload
	buffer_load_dword v113, off, s[0:3], 0 offset:1380 ; 4-byte Folded Reload
	buffer_load_dword v114, off, s[0:3], 0 offset:1384 ; 4-byte Folded Reload
	buffer_load_dword v115, off, s[0:3], 0 offset:1388 ; 4-byte Folded Reload
	buffer_load_dword v116, off, s[0:3], 0 offset:1392 ; 4-byte Folded Reload
	buffer_load_dword v117, off, s[0:3], 0 offset:1396 ; 4-byte Folded Reload
	buffer_load_dword v118, off, s[0:3], 0 offset:1400 ; 4-byte Folded Reload
	buffer_load_dword v119, off, s[0:3], 0 offset:1404 ; 4-byte Folded Reload
	buffer_load_dword v120, off, s[0:3], 0 offset:1408 ; 4-byte Folded Reload
	buffer_load_dword v121, off, s[0:3], 0 offset:1412 ; 4-byte Folded Reload
	buffer_load_dword v122, off, s[0:3], 0 offset:1416 ; 4-byte Folded Reload
	buffer_load_dword v123, off, s[0:3], 0 offset:1420 ; 4-byte Folded Reload
	buffer_load_dword v124, off, s[0:3], 0 offset:1424 ; 4-byte Folded Reload
	buffer_load_dword v125, off, s[0:3], 0 offset:1428 ; 4-byte Folded Reload
	buffer_load_dword v126, off, s[0:3], 0 offset:1432 ; 4-byte Folded Reload
	buffer_load_dword v127, off, s[0:3], 0 offset:1436 ; 4-byte Folded Reload
	buffer_load_dword v128, off, s[0:3], 0 offset:1440 ; 4-byte Folded Reload
	buffer_load_dword v129, off, s[0:3], 0 offset:1444 ; 4-byte Folded Reload
	buffer_load_dword v130, off, s[0:3], 0 offset:1448 ; 4-byte Folded Reload
	buffer_load_dword v131, off, s[0:3], 0 offset:1452 ; 4-byte Folded Reload
	buffer_load_dword v132, off, s[0:3], 0 offset:1456 ; 4-byte Folded Reload
	buffer_load_dword v133, off, s[0:3], 0 offset:1460 ; 4-byte Folded Reload
	buffer_load_dword v134, off, s[0:3], 0 offset:1464 ; 4-byte Folded Reload
	buffer_load_dword v135, off, s[0:3], 0 offset:1468 ; 4-byte Folded Reload
	buffer_load_dword v136, off, s[0:3], 0 offset:1472 ; 4-byte Folded Reload
	buffer_load_dword v137, off, s[0:3], 0 offset:1476 ; 4-byte Folded Reload
	buffer_load_dword v138, off, s[0:3], 0 offset:1480 ; 4-byte Folded Reload
	buffer_load_dword v139, off, s[0:3], 0 offset:1484 ; 4-byte Folded Reload
	buffer_load_dword v140, off, s[0:3], 0 offset:1488 ; 4-byte Folded Reload
	buffer_load_dword v141, off, s[0:3], 0 offset:1492 ; 4-byte Folded Reload
	buffer_load_dword v142, off, s[0:3], 0 offset:1496 ; 4-byte Folded Reload
	buffer_load_dword v143, off, s[0:3], 0 offset:1500 ; 4-byte Folded Reload
	s_waitcnt vmcnt(19)
	v_mov_b32_e32 v42, v124
	buffer_load_dword v112, off, s[0:3], 0 offset:1504 ; 4-byte Folded Reload
	buffer_load_dword v113, off, s[0:3], 0 offset:1508 ; 4-byte Folded Reload
	buffer_load_dword v114, off, s[0:3], 0 offset:1512 ; 4-byte Folded Reload
	buffer_load_dword v115, off, s[0:3], 0 offset:1516 ; 4-byte Folded Reload
	buffer_load_dword v116, off, s[0:3], 0 offset:1520 ; 4-byte Folded Reload
	buffer_load_dword v117, off, s[0:3], 0 offset:1524 ; 4-byte Folded Reload
	buffer_load_dword v118, off, s[0:3], 0 offset:1528 ; 4-byte Folded Reload
	buffer_load_dword v119, off, s[0:3], 0 offset:1532 ; 4-byte Folded Reload
	buffer_load_dword v120, off, s[0:3], 0 offset:1536 ; 4-byte Folded Reload
	buffer_load_dword v121, off, s[0:3], 0 offset:1540 ; 4-byte Folded Reload
	buffer_load_dword v122, off, s[0:3], 0 offset:1544 ; 4-byte Folded Reload
	buffer_load_dword v123, off, s[0:3], 0 offset:1548 ; 4-byte Folded Reload
	buffer_load_dword v124, off, s[0:3], 0 offset:1552 ; 4-byte Folded Reload
	buffer_load_dword v125, off, s[0:3], 0 offset:1556 ; 4-byte Folded Reload
	buffer_load_dword v126, off, s[0:3], 0 offset:1560 ; 4-byte Folded Reload
	buffer_load_dword v127, off, s[0:3], 0 offset:1564 ; 4-byte Folded Reload
	buffer_load_dword v128, off, s[0:3], 0 offset:1568 ; 4-byte Folded Reload
	buffer_load_dword v129, off, s[0:3], 0 offset:1572 ; 4-byte Folded Reload
	buffer_load_dword v130, off, s[0:3], 0 offset:1576 ; 4-byte Folded Reload
	buffer_load_dword v131, off, s[0:3], 0 offset:1580 ; 4-byte Folded Reload
	buffer_load_dword v132, off, s[0:3], 0 offset:1584 ; 4-byte Folded Reload
	buffer_load_dword v133, off, s[0:3], 0 offset:1588 ; 4-byte Folded Reload
	buffer_load_dword v134, off, s[0:3], 0 offset:1592 ; 4-byte Folded Reload
	buffer_load_dword v135, off, s[0:3], 0 offset:1596 ; 4-byte Folded Reload
	buffer_load_dword v136, off, s[0:3], 0 offset:1600 ; 4-byte Folded Reload
	buffer_load_dword v137, off, s[0:3], 0 offset:1604 ; 4-byte Folded Reload
	buffer_load_dword v138, off, s[0:3], 0 offset:1608 ; 4-byte Folded Reload
	buffer_load_dword v139, off, s[0:3], 0 offset:1612 ; 4-byte Folded Reload
	buffer_load_dword v140, off, s[0:3], 0 offset:1616 ; 4-byte Folded Reload
	buffer_load_dword v141, off, s[0:3], 0 offset:1620 ; 4-byte Folded Reload
	buffer_load_dword v142, off, s[0:3], 0 offset:1624 ; 4-byte Folded Reload
	buffer_load_dword v143, off, s[0:3], 0 offset:1628 ; 4-byte Folded Reload
	s_waitcnt vmcnt(21)
	v_mov_b32_e32 v44, v122
	;; [unrolled: 34-line block ×6, first 2 shown]
.LBB2_119:                              ; =>This Inner Loop Header: Depth=1
	v_cmp_eq_u32_e32 vcc, 1, v10
	v_cmp_eq_u32_e64 s[4:5], 2, v10
	v_cmp_eq_u32_e64 s[6:7], 3, v10
	v_cmp_eq_u32_e64 s[8:9], 4, v10
	v_cmp_eq_u32_e64 s[10:11], 5, v10
	v_cmp_eq_u32_e64 s[12:13], 6, v10
	v_cmp_eq_u32_e64 s[14:15], 7, v10
	v_cmp_eq_u32_e64 s[16:17], 8, v10
	v_cmp_eq_u32_e64 s[18:19], 0, v10
	v_lshl_add_u32 v10, v10, 2, v9
	buffer_load_dword v10, v10, s[0:3], 0 offen
	v_cndmask_b32_e32 v11, v103, v19, vcc
	v_cndmask_b32_e64 v11, v11, v17, s[4:5]
	v_cndmask_b32_e64 v11, v11, v21, s[6:7]
	;; [unrolled: 1-line block ×5, first 2 shown]
	v_cndmask_b32_e32 v12, v102, v18, vcc
	v_cndmask_b32_e64 v11, v11, v55, s[14:15]
	v_cndmask_b32_e64 v12, v12, v16, s[4:5]
	;; [unrolled: 1-line block ×3, first 2 shown]
	v_cndmask_b32_e32 v11, v25, v27, vcc
	v_cndmask_b32_e32 v14, v24, v26, vcc
	v_cndmask_b32_e64 v12, v12, v20, s[6:7]
	v_cndmask_b32_e64 v11, v11, v29, s[4:5]
	;; [unrolled: 1-line block ×20, first 2 shown]
	v_add_f64 v[12:13], -v[12:13], 1.0
	v_add_f64 v[12:13], v[12:13], -v[14:15]
	v_cndmask_b32_e32 v253, v253, v13, vcc
	v_cndmask_b32_e32 v252, v252, v12, vcc
	v_cndmask_b32_e64 v33, v33, v13, s[16:17]
	v_cndmask_b32_e64 v32, v32, v12, s[16:17]
	;; [unrolled: 1-line block ×16, first 2 shown]
	s_waitcnt vmcnt(0)
	v_cmp_gt_i32_e32 vcc, 0, v10
	s_or_b64 s[22:23], vcc, s[22:23]
	s_andn2_b64 exec, exec, s[22:23]
	s_cbranch_execnz .LBB2_119
; %bb.120:
	s_or_b64 exec, exec, s[22:23]
	buffer_store_dword v20, off, s[0:3], 0 offset:864 ; 4-byte Folded Spill
	s_nop 0
	buffer_store_dword v21, off, s[0:3], 0 offset:868 ; 4-byte Folded Spill
	buffer_store_dword v22, off, s[0:3], 0 offset:872 ; 4-byte Folded Spill
	;; [unrolled: 1-line block ×32, first 2 shown]
	s_nop 0
	buffer_store_dword v17, off, s[0:3], 0 offset:484 ; 4-byte Folded Spill
	buffer_store_dword v18, off, s[0:3], 0 offset:488 ; 4-byte Folded Spill
	;; [unrolled: 1-line block ×31, first 2 shown]
	v_accvgpr_write_b32 a153, v39
	v_accvgpr_write_b32 a141, v37
	buffer_store_dword v20, off, s[0:3], 0 offset:992 ; 4-byte Folded Spill
	s_nop 0
	buffer_store_dword v21, off, s[0:3], 0 offset:996 ; 4-byte Folded Spill
	buffer_store_dword v22, off, s[0:3], 0 offset:1000 ; 4-byte Folded Spill
	;; [unrolled: 1-line block ×32, first 2 shown]
	s_nop 0
	buffer_store_dword v17, off, s[0:3], 0 offset:740 ; 4-byte Folded Spill
	buffer_store_dword v18, off, s[0:3], 0 offset:744 ; 4-byte Folded Spill
	;; [unrolled: 1-line block ×31, first 2 shown]
.LBB2_121:
	s_or_b64 exec, exec, s[20:21]
	v_cmp_lt_i32_e32 vcc, -1, v8
	s_mov_b64 s[18:19], exec
	v_accvgpr_read_b32 v48, a250
	v_accvgpr_read_b32 v52, a254
	s_and_b64 s[4:5], s[18:19], vcc
	v_accvgpr_read_b32 v49, a251
	v_accvgpr_read_b32 v53, a255
	s_mov_b64 exec, s[4:5]
	s_cbranch_execz .LBB2_127
; %bb.122:
	v_mov_b32_e32 v30, 0
	v_lshl_add_u32 v9, v8, 2, v30
	buffer_load_dword v14, v9, s[0:3], 0 offen
	s_waitcnt vmcnt(0)
	v_lshl_add_u32 v9, v14, 2, v30
	buffer_load_dword v31, v9, s[0:3], 0 offen
	s_waitcnt vmcnt(0)
	v_cmp_lt_i32_e32 vcc, -1, v31
	s_and_saveexec_b64 s[20:21], vcc
	s_cbranch_execz .LBB2_126
; %bb.123:
	buffer_load_dword v112, off, s[0:3], 0 offset:224 ; 4-byte Folded Reload
	buffer_load_dword v113, off, s[0:3], 0 offset:228 ; 4-byte Folded Reload
	;; [unrolled: 1-line block ×32, first 2 shown]
	v_cmp_eq_u32_e32 vcc, 1, v8
	v_cmp_eq_u32_e64 s[4:5], 2, v8
	v_cndmask_b32_e32 v10, v25, v27, vcc
	v_cndmask_b32_e32 v11, v24, v26, vcc
	v_cmp_eq_u32_e64 s[6:7], 3, v8
	v_cndmask_b32_e64 v10, v10, v29, s[4:5]
	v_cndmask_b32_e64 v11, v11, v28, s[4:5]
	v_cmp_eq_u32_e64 s[8:9], 4, v8
	v_cmp_eq_u32_e64 s[10:11], 5, v8
	v_accvgpr_read_b32 v83, a25
	v_cmp_eq_u32_e64 s[12:13], 6, v8
	v_accvgpr_read_b32 v81, a13
	v_cmp_eq_u32_e64 s[14:15], 7, v8
	v_cmp_eq_u32_e64 s[16:17], 8, v8
	v_accvgpr_read_b32 v70, a58
	v_cndmask_b32_e32 v9, v103, v53, vcc
	v_cndmask_b32_e32 v8, v102, v52, vcc
	;; [unrolled: 1-line block ×3, first 2 shown]
	v_cndmask_b32_e64 v9, v9, v49, s[4:5]
	v_cndmask_b32_e64 v8, v8, v48, s[4:5]
	;; [unrolled: 1-line block ×4, first 2 shown]
	v_accvgpr_read_b32 v91, a217
	v_accvgpr_read_b32 v73, a153
	v_cndmask_b32_e64 v13, v13, v74, s[8:9]
	v_accvgpr_read_b32 v89, a117
	v_accvgpr_read_b32 v71, a141
	v_cndmask_b32_e64 v13, v13, v110, s[10:11]
	v_accvgpr_read_b32 v87, a169
	v_cndmask_b32_e64 v13, v13, v146, s[12:13]
	v_accvgpr_read_b32 v85, a205
	v_pk_mov_b32 v[58:59], v[24:25], v[24:25] op_sel:[0,1]
	s_mov_b64 s[22:23], 0
	v_pk_mov_b32 v[54:55], v[28:29], v[28:29] op_sel:[0,1]
	v_pk_mov_b32 v[56:57], v[26:27], v[26:27] op_sel:[0,1]
	s_waitcnt vmcnt(24)
	v_pk_mov_b32 v[60:61], v[118:119], v[118:119] op_sel:[0,1]
	buffer_load_dword v112, off, s[0:3], 0 offset:96 ; 4-byte Folded Reload
	buffer_load_dword v113, off, s[0:3], 0 offset:100 ; 4-byte Folded Reload
	;; [unrolled: 1-line block ×32, first 2 shown]
	v_cndmask_b32_e64 v9, v9, v61, s[6:7]
	v_cndmask_b32_e64 v8, v8, v60, s[6:7]
	s_waitcnt vmcnt(22)
	v_pk_mov_b32 v[62:63], v[120:121], v[120:121] op_sel:[0,1]
	buffer_load_dword v112, off, s[0:3], 0 offset:2144 ; 4-byte Folded Reload
	buffer_load_dword v113, off, s[0:3], 0 offset:2148 ; 4-byte Folded Reload
	;; [unrolled: 1-line block ×32, first 2 shown]
	v_cndmask_b32_e64 v9, v9, v63, s[8:9]
	v_cndmask_b32_e64 v8, v8, v62, s[8:9]
	;; [unrolled: 1-line block ×6, first 2 shown]
	s_waitcnt vmcnt(21)
	v_mov_b32_e32 v86, v122
	buffer_load_dword v112, off, s[0:3], 0 offset:2016 ; 4-byte Folded Reload
	buffer_load_dword v113, off, s[0:3], 0 offset:2020 ; 4-byte Folded Reload
	buffer_load_dword v114, off, s[0:3], 0 offset:2024 ; 4-byte Folded Reload
	buffer_load_dword v115, off, s[0:3], 0 offset:2028 ; 4-byte Folded Reload
	buffer_load_dword v116, off, s[0:3], 0 offset:2032 ; 4-byte Folded Reload
	buffer_load_dword v117, off, s[0:3], 0 offset:2036 ; 4-byte Folded Reload
	buffer_load_dword v118, off, s[0:3], 0 offset:2040 ; 4-byte Folded Reload
	buffer_load_dword v119, off, s[0:3], 0 offset:2044 ; 4-byte Folded Reload
	buffer_load_dword v120, off, s[0:3], 0 offset:2048 ; 4-byte Folded Reload
	buffer_load_dword v121, off, s[0:3], 0 offset:2052 ; 4-byte Folded Reload
	buffer_load_dword v122, off, s[0:3], 0 offset:2056 ; 4-byte Folded Reload
	buffer_load_dword v123, off, s[0:3], 0 offset:2060 ; 4-byte Folded Reload
	buffer_load_dword v124, off, s[0:3], 0 offset:2064 ; 4-byte Folded Reload
	buffer_load_dword v125, off, s[0:3], 0 offset:2068 ; 4-byte Folded Reload
	buffer_load_dword v126, off, s[0:3], 0 offset:2072 ; 4-byte Folded Reload
	buffer_load_dword v127, off, s[0:3], 0 offset:2076 ; 4-byte Folded Reload
	buffer_load_dword v128, off, s[0:3], 0 offset:2080 ; 4-byte Folded Reload
	buffer_load_dword v129, off, s[0:3], 0 offset:2084 ; 4-byte Folded Reload
	buffer_load_dword v130, off, s[0:3], 0 offset:2088 ; 4-byte Folded Reload
	buffer_load_dword v131, off, s[0:3], 0 offset:2092 ; 4-byte Folded Reload
	buffer_load_dword v132, off, s[0:3], 0 offset:2096 ; 4-byte Folded Reload
	buffer_load_dword v133, off, s[0:3], 0 offset:2100 ; 4-byte Folded Reload
	buffer_load_dword v134, off, s[0:3], 0 offset:2104 ; 4-byte Folded Reload
	buffer_load_dword v135, off, s[0:3], 0 offset:2108 ; 4-byte Folded Reload
	buffer_load_dword v136, off, s[0:3], 0 offset:2112 ; 4-byte Folded Reload
	buffer_load_dword v137, off, s[0:3], 0 offset:2116 ; 4-byte Folded Reload
	buffer_load_dword v138, off, s[0:3], 0 offset:2120 ; 4-byte Folded Reload
	buffer_load_dword v139, off, s[0:3], 0 offset:2124 ; 4-byte Folded Reload
	buffer_load_dword v140, off, s[0:3], 0 offset:2128 ; 4-byte Folded Reload
	buffer_load_dword v141, off, s[0:3], 0 offset:2132 ; 4-byte Folded Reload
	buffer_load_dword v142, off, s[0:3], 0 offset:2136 ; 4-byte Folded Reload
	buffer_load_dword v143, off, s[0:3], 0 offset:2140 ; 4-byte Folded Reload
	v_cndmask_b32_e64 v8, v8, v86, s[10:11]
	s_waitcnt vmcnt(19)
	v_mov_b32_e32 v84, v124
	buffer_load_dword v112, off, s[0:3], 0 offset:1888 ; 4-byte Folded Reload
	buffer_load_dword v113, off, s[0:3], 0 offset:1892 ; 4-byte Folded Reload
	buffer_load_dword v114, off, s[0:3], 0 offset:1896 ; 4-byte Folded Reload
	buffer_load_dword v115, off, s[0:3], 0 offset:1900 ; 4-byte Folded Reload
	buffer_load_dword v116, off, s[0:3], 0 offset:1904 ; 4-byte Folded Reload
	buffer_load_dword v117, off, s[0:3], 0 offset:1908 ; 4-byte Folded Reload
	buffer_load_dword v118, off, s[0:3], 0 offset:1912 ; 4-byte Folded Reload
	buffer_load_dword v119, off, s[0:3], 0 offset:1916 ; 4-byte Folded Reload
	buffer_load_dword v120, off, s[0:3], 0 offset:1920 ; 4-byte Folded Reload
	buffer_load_dword v121, off, s[0:3], 0 offset:1924 ; 4-byte Folded Reload
	buffer_load_dword v122, off, s[0:3], 0 offset:1928 ; 4-byte Folded Reload
	buffer_load_dword v123, off, s[0:3], 0 offset:1932 ; 4-byte Folded Reload
	buffer_load_dword v124, off, s[0:3], 0 offset:1936 ; 4-byte Folded Reload
	buffer_load_dword v125, off, s[0:3], 0 offset:1940 ; 4-byte Folded Reload
	buffer_load_dword v126, off, s[0:3], 0 offset:1944 ; 4-byte Folded Reload
	buffer_load_dword v127, off, s[0:3], 0 offset:1948 ; 4-byte Folded Reload
	buffer_load_dword v128, off, s[0:3], 0 offset:1952 ; 4-byte Folded Reload
	buffer_load_dword v129, off, s[0:3], 0 offset:1956 ; 4-byte Folded Reload
	buffer_load_dword v130, off, s[0:3], 0 offset:1960 ; 4-byte Folded Reload
	buffer_load_dword v131, off, s[0:3], 0 offset:1964 ; 4-byte Folded Reload
	buffer_load_dword v132, off, s[0:3], 0 offset:1968 ; 4-byte Folded Reload
	buffer_load_dword v133, off, s[0:3], 0 offset:1972 ; 4-byte Folded Reload
	buffer_load_dword v134, off, s[0:3], 0 offset:1976 ; 4-byte Folded Reload
	buffer_load_dword v135, off, s[0:3], 0 offset:1980 ; 4-byte Folded Reload
	buffer_load_dword v136, off, s[0:3], 0 offset:1984 ; 4-byte Folded Reload
	buffer_load_dword v137, off, s[0:3], 0 offset:1988 ; 4-byte Folded Reload
	buffer_load_dword v138, off, s[0:3], 0 offset:1992 ; 4-byte Folded Reload
	buffer_load_dword v139, off, s[0:3], 0 offset:1996 ; 4-byte Folded Reload
	buffer_load_dword v140, off, s[0:3], 0 offset:2000 ; 4-byte Folded Reload
	buffer_load_dword v141, off, s[0:3], 0 offset:2004 ; 4-byte Folded Reload
	buffer_load_dword v142, off, s[0:3], 0 offset:2008 ; 4-byte Folded Reload
	buffer_load_dword v143, off, s[0:3], 0 offset:2012 ; 4-byte Folded Reload
	v_cndmask_b32_e64 v8, v8, v84, s[12:13]
	;; [unrolled: 35-line block ×4, first 2 shown]
	s_waitcnt vmcnt(24)
	v_pk_mov_b32 v[64:65], v[118:119], v[118:119] op_sel:[0,1]
	buffer_load_dword v112, off, s[0:3], 0 offset:608 ; 4-byte Folded Reload
	buffer_load_dword v113, off, s[0:3], 0 offset:612 ; 4-byte Folded Reload
	;; [unrolled: 1-line block ×32, first 2 shown]
	v_cndmask_b32_e64 v10, v10, v65, s[6:7]
	v_cndmask_b32_e64 v11, v11, v64, s[6:7]
	s_waitcnt vmcnt(22)
	v_pk_mov_b32 v[50:51], v[120:121], v[120:121] op_sel:[0,1]
	buffer_load_dword v112, off, s[0:3], 0 offset:1632 ; 4-byte Folded Reload
	buffer_load_dword v113, off, s[0:3], 0 offset:1636 ; 4-byte Folded Reload
	;; [unrolled: 1-line block ×32, first 2 shown]
	v_cndmask_b32_e64 v10, v10, v51, s[8:9]
	v_cndmask_b32_e64 v11, v11, v50, s[8:9]
	;; [unrolled: 1-line block ×4, first 2 shown]
	s_waitcnt vmcnt(16)
	v_mov_b32_e32 v79, v127
	buffer_load_dword v112, off, s[0:3], 0 offset:1504 ; 4-byte Folded Reload
	buffer_load_dword v113, off, s[0:3], 0 offset:1508 ; 4-byte Folded Reload
	buffer_load_dword v114, off, s[0:3], 0 offset:1512 ; 4-byte Folded Reload
	buffer_load_dword v115, off, s[0:3], 0 offset:1516 ; 4-byte Folded Reload
	buffer_load_dword v116, off, s[0:3], 0 offset:1520 ; 4-byte Folded Reload
	buffer_load_dword v117, off, s[0:3], 0 offset:1524 ; 4-byte Folded Reload
	buffer_load_dword v118, off, s[0:3], 0 offset:1528 ; 4-byte Folded Reload
	buffer_load_dword v119, off, s[0:3], 0 offset:1532 ; 4-byte Folded Reload
	buffer_load_dword v120, off, s[0:3], 0 offset:1536 ; 4-byte Folded Reload
	buffer_load_dword v121, off, s[0:3], 0 offset:1540 ; 4-byte Folded Reload
	buffer_load_dword v122, off, s[0:3], 0 offset:1544 ; 4-byte Folded Reload
	buffer_load_dword v123, off, s[0:3], 0 offset:1548 ; 4-byte Folded Reload
	buffer_load_dword v124, off, s[0:3], 0 offset:1552 ; 4-byte Folded Reload
	buffer_load_dword v125, off, s[0:3], 0 offset:1556 ; 4-byte Folded Reload
	buffer_load_dword v126, off, s[0:3], 0 offset:1560 ; 4-byte Folded Reload
	buffer_load_dword v127, off, s[0:3], 0 offset:1564 ; 4-byte Folded Reload
	buffer_load_dword v128, off, s[0:3], 0 offset:1568 ; 4-byte Folded Reload
	buffer_load_dword v129, off, s[0:3], 0 offset:1572 ; 4-byte Folded Reload
	buffer_load_dword v130, off, s[0:3], 0 offset:1576 ; 4-byte Folded Reload
	buffer_load_dword v131, off, s[0:3], 0 offset:1580 ; 4-byte Folded Reload
	buffer_load_dword v132, off, s[0:3], 0 offset:1584 ; 4-byte Folded Reload
	buffer_load_dword v133, off, s[0:3], 0 offset:1588 ; 4-byte Folded Reload
	buffer_load_dword v134, off, s[0:3], 0 offset:1592 ; 4-byte Folded Reload
	buffer_load_dword v135, off, s[0:3], 0 offset:1596 ; 4-byte Folded Reload
	buffer_load_dword v136, off, s[0:3], 0 offset:1600 ; 4-byte Folded Reload
	buffer_load_dword v137, off, s[0:3], 0 offset:1604 ; 4-byte Folded Reload
	buffer_load_dword v138, off, s[0:3], 0 offset:1608 ; 4-byte Folded Reload
	buffer_load_dword v139, off, s[0:3], 0 offset:1612 ; 4-byte Folded Reload
	buffer_load_dword v140, off, s[0:3], 0 offset:1616 ; 4-byte Folded Reload
	buffer_load_dword v141, off, s[0:3], 0 offset:1620 ; 4-byte Folded Reload
	buffer_load_dword v142, off, s[0:3], 0 offset:1624 ; 4-byte Folded Reload
	buffer_load_dword v143, off, s[0:3], 0 offset:1628 ; 4-byte Folded Reload
	v_cndmask_b32_e64 v10, v10, v79, s[14:15]
	s_waitcnt vmcnt(21)
	v_mov_b32_e32 v78, v122
	buffer_load_dword v112, off, s[0:3], 0 offset:1376 ; 4-byte Folded Reload
	buffer_load_dword v113, off, s[0:3], 0 offset:1380 ; 4-byte Folded Reload
	buffer_load_dword v114, off, s[0:3], 0 offset:1384 ; 4-byte Folded Reload
	buffer_load_dword v115, off, s[0:3], 0 offset:1388 ; 4-byte Folded Reload
	buffer_load_dword v116, off, s[0:3], 0 offset:1392 ; 4-byte Folded Reload
	buffer_load_dword v117, off, s[0:3], 0 offset:1396 ; 4-byte Folded Reload
	buffer_load_dword v118, off, s[0:3], 0 offset:1400 ; 4-byte Folded Reload
	buffer_load_dword v119, off, s[0:3], 0 offset:1404 ; 4-byte Folded Reload
	buffer_load_dword v120, off, s[0:3], 0 offset:1408 ; 4-byte Folded Reload
	buffer_load_dword v121, off, s[0:3], 0 offset:1412 ; 4-byte Folded Reload
	buffer_load_dword v122, off, s[0:3], 0 offset:1416 ; 4-byte Folded Reload
	buffer_load_dword v123, off, s[0:3], 0 offset:1420 ; 4-byte Folded Reload
	buffer_load_dword v124, off, s[0:3], 0 offset:1424 ; 4-byte Folded Reload
	buffer_load_dword v125, off, s[0:3], 0 offset:1428 ; 4-byte Folded Reload
	buffer_load_dword v126, off, s[0:3], 0 offset:1432 ; 4-byte Folded Reload
	buffer_load_dword v127, off, s[0:3], 0 offset:1436 ; 4-byte Folded Reload
	buffer_load_dword v128, off, s[0:3], 0 offset:1440 ; 4-byte Folded Reload
	buffer_load_dword v129, off, s[0:3], 0 offset:1444 ; 4-byte Folded Reload
	buffer_load_dword v130, off, s[0:3], 0 offset:1448 ; 4-byte Folded Reload
	buffer_load_dword v131, off, s[0:3], 0 offset:1452 ; 4-byte Folded Reload
	buffer_load_dword v132, off, s[0:3], 0 offset:1456 ; 4-byte Folded Reload
	buffer_load_dword v133, off, s[0:3], 0 offset:1460 ; 4-byte Folded Reload
	buffer_load_dword v134, off, s[0:3], 0 offset:1464 ; 4-byte Folded Reload
	buffer_load_dword v135, off, s[0:3], 0 offset:1468 ; 4-byte Folded Reload
	buffer_load_dword v136, off, s[0:3], 0 offset:1472 ; 4-byte Folded Reload
	buffer_load_dword v137, off, s[0:3], 0 offset:1476 ; 4-byte Folded Reload
	buffer_load_dword v138, off, s[0:3], 0 offset:1480 ; 4-byte Folded Reload
	buffer_load_dword v139, off, s[0:3], 0 offset:1484 ; 4-byte Folded Reload
	buffer_load_dword v140, off, s[0:3], 0 offset:1488 ; 4-byte Folded Reload
	buffer_load_dword v141, off, s[0:3], 0 offset:1492 ; 4-byte Folded Reload
	buffer_load_dword v142, off, s[0:3], 0 offset:1496 ; 4-byte Folded Reload
	buffer_load_dword v143, off, s[0:3], 0 offset:1500 ; 4-byte Folded Reload
	v_cndmask_b32_e64 v11, v11, v78, s[10:11]
	;; [unrolled: 35-line block ×5, first 2 shown]
	v_cndmask_b32_e64 v10, v12, v70, s[16:17]
	v_cndmask_b32_e32 v12, v251, v253, vcc
	v_cmp_eq_u32_e32 vcc, 1, v14
	v_cndmask_b32_e64 v12, v12, v255, s[4:5]
	v_cmp_eq_u32_e64 s[4:5], 2, v14
	v_cndmask_b32_e32 v16, v103, v53, vcc
	v_cndmask_b32_e32 v17, v102, v52, vcc
	v_cndmask_b32_e64 v12, v12, v41, s[6:7]
	v_cmp_eq_u32_e64 s[6:7], 3, v14
	v_cndmask_b32_e64 v16, v16, v49, s[4:5]
	v_cndmask_b32_e64 v17, v17, v48, s[4:5]
	v_cndmask_b32_e64 v12, v12, v75, s[8:9]
	v_cmp_eq_u32_e64 s[8:9], 4, v14
	v_cndmask_b32_e64 v16, v16, v61, s[6:7]
	v_cndmask_b32_e64 v17, v17, v60, s[6:7]
	;; [unrolled: 4-line block ×4, first 2 shown]
	v_cndmask_b32_e64 v16, v16, v89, s[12:13]
	v_cndmask_b32_e64 v17, v17, v84, s[12:13]
	s_waitcnt vmcnt(16)
	v_mov_b32_e32 v69, v127
	buffer_load_dword v112, off, s[0:3], 0 offset:864 ; 4-byte Folded Reload
	buffer_load_dword v113, off, s[0:3], 0 offset:868 ; 4-byte Folded Reload
	;; [unrolled: 1-line block ×32, first 2 shown]
	v_cndmask_b32_e64 v12, v12, v69, s[14:15]
	s_waitcnt vmcnt(17)
	v_mov_b32_e32 v68, v126
	buffer_load_dword v112, off, s[0:3], 0 offset:736 ; 4-byte Folded Reload
	buffer_load_dword v113, off, s[0:3], 0 offset:740 ; 4-byte Folded Reload
	;; [unrolled: 1-line block ×32, first 2 shown]
	v_cndmask_b32_e64 v15, v13, v68, s[14:15]
	v_cmp_eq_u32_e64 s[14:15], 7, v14
	v_cndmask_b32_e64 v16, v16, v87, s[14:15]
	v_cndmask_b32_e64 v17, v17, v82, s[14:15]
	s_waitcnt vmcnt(14)
	v_mov_b32_e32 v67, v129
	buffer_load_dword v112, off, s[0:3], 0 offset:480 ; 4-byte Folded Reload
	buffer_load_dword v113, off, s[0:3], 0 offset:484 ; 4-byte Folded Reload
	;; [unrolled: 1-line block ×32, first 2 shown]
	v_cndmask_b32_e64 v13, v12, v67, s[16:17]
	s_waitcnt vmcnt(15)
	v_mov_b32_e32 v66, v128
	v_cndmask_b32_e64 v12, v15, v66, s[16:17]
	v_cndmask_b32_e32 v15, v25, v27, vcc
	v_cmp_eq_u32_e64 s[16:17], 8, v14
	v_cndmask_b32_e32 v14, v24, v26, vcc
	v_cndmask_b32_e64 v15, v15, v29, s[4:5]
	v_cndmask_b32_e64 v14, v14, v28, s[4:5]
	;; [unrolled: 1-line block ×4, first 2 shown]
	v_cndmask_b32_e32 v16, v251, v253, vcc
	v_cndmask_b32_e32 v17, v250, v252, vcc
	v_cndmask_b32_e64 v15, v15, v65, s[6:7]
	v_cndmask_b32_e64 v14, v14, v64, s[6:7]
	;; [unrolled: 1-line block ×26, first 2 shown]
	v_add_f64 v[28:29], v[14:15], -v[10:11]
	v_add_f64 v[26:27], v[22:23], -v[8:9]
	v_mul_f64 v[16:17], v[8:9], v[12:13]
	v_mul_f64 v[18:19], v[10:11], v[12:13]
	v_mul_f64 v[20:21], v[12:13], v[12:13]
.LBB2_124:                              ; =>This Inner Loop Header: Depth=1
	v_cmp_eq_u32_e32 vcc, 1, v31
	v_cndmask_b32_e32 v32, v103, v53, vcc
	v_cmp_eq_u32_e64 s[4:5], 2, v31
	v_cndmask_b32_e32 v33, v102, v52, vcc
	v_cndmask_b32_e64 v32, v32, v49, s[4:5]
	v_cmp_eq_u32_e64 s[6:7], 3, v31
	v_cndmask_b32_e64 v33, v33, v48, s[4:5]
	v_cndmask_b32_e64 v32, v32, v61, s[6:7]
	v_cmp_eq_u32_e64 s[8:9], 4, v31
	v_cndmask_b32_e64 v33, v33, v60, s[6:7]
	v_cndmask_b32_e64 v32, v32, v63, s[8:9]
	v_cmp_eq_u32_e64 s[10:11], 5, v31
	v_cndmask_b32_e64 v33, v33, v62, s[8:9]
	v_cndmask_b32_e64 v32, v32, v91, s[10:11]
	v_cmp_eq_u32_e64 s[12:13], 6, v31
	v_cndmask_b32_e64 v33, v33, v86, s[10:11]
	v_cndmask_b32_e64 v32, v32, v89, s[12:13]
	v_cmp_eq_u32_e64 s[14:15], 7, v31
	v_cndmask_b32_e64 v33, v33, v84, s[12:13]
	v_cndmask_b32_e64 v32, v32, v87, s[14:15]
	v_cmp_eq_u32_e64 s[16:17], 8, v31
	v_cndmask_b32_e64 v34, v33, v82, s[14:15]
	v_cndmask_b32_e64 v33, v32, v85, s[16:17]
	v_cndmask_b32_e64 v32, v34, v80, s[16:17]
	v_cndmask_b32_e32 v34, v59, v57, vcc
	v_cndmask_b32_e32 v35, v58, v56, vcc
	v_cndmask_b32_e64 v34, v34, v55, s[4:5]
	v_cndmask_b32_e64 v35, v35, v54, s[4:5]
	;; [unrolled: 1-line block ×14, first 2 shown]
	v_add_f64 v[36:37], v[32:33], -v[8:9]
	v_mul_f64 v[28:29], v[36:37], v[28:29]
	v_add_f64 v[38:39], v[34:35], -v[10:11]
	v_fma_f64 v[26:27], v[38:39], v[26:27], -v[28:29]
	v_cndmask_b32_e32 v28, v251, v253, vcc
	v_cndmask_b32_e32 v29, v250, v252, vcc
	v_cndmask_b32_e64 v28, v28, v255, s[4:5]
	v_cndmask_b32_e64 v29, v29, v254, s[4:5]
	v_cndmask_b32_e64 v28, v28, v41, s[6:7]
	v_cndmask_b32_e64 v29, v29, v40, s[6:7]
	v_cndmask_b32_e64 v28, v28, v75, s[8:9]
	v_cndmask_b32_e64 v29, v29, v74, s[8:9]
	v_cndmask_b32_e64 v28, v28, v73, s[10:11]
	v_cndmask_b32_e64 v29, v29, v110, s[10:11]
	v_cndmask_b32_e64 v28, v28, v71, s[12:13]
	v_cndmask_b32_e64 v29, v29, v146, s[12:13]
	v_cndmask_b32_e64 v28, v28, v69, s[14:15]
	v_cndmask_b32_e64 v29, v29, v68, s[14:15]
	v_cndmask_b32_e64 v43, v28, v67, s[16:17]
	v_cndmask_b32_e64 v42, v29, v66, s[16:17]
	v_fma_f64 v[44:45], v[24:25], v[24:25], v[20:21]
	v_fmac_f64_e32 v[44:45], v[42:43], v[42:43]
	v_fmac_f64_e32 v[44:45], v[12:13], v[24:25]
	;; [unrolled: 1-line block ×3, first 2 shown]
	v_add_f64 v[46:47], v[12:13], v[24:25]
	v_add_f64 v[28:29], v[8:9], v[22:23]
	v_fma_f64 v[22:23], v[22:23], v[24:25], v[16:17]
	v_fmac_f64_e32 v[44:45], v[42:43], v[24:25]
	v_fma_f64 v[24:25], v[14:15], v[24:25], v[18:19]
	v_add_f64 v[14:15], v[10:11], v[14:15]
	v_add_f64 v[46:47], v[42:43], v[46:47]
	;; [unrolled: 1-line block ×3, first 2 shown]
	v_fmac_f64_e32 v[6:7], v[46:47], v[26:27]
	v_mul_f64 v[46:47], v[46:47], v[26:27]
	v_mul_f64 v[14:15], v[14:15], v[46:47]
	v_fmac_f64_e32 v[24:25], v[34:35], v[42:43]
	v_fmac_f64_e32 v[14:15], v[24:25], v[26:27]
	v_add_f64 v[2:3], v[2:3], v[14:15]
	v_lshl_add_u32 v14, v31, 2, v30
	buffer_load_dword v31, v14, s[0:3], 0 offen
	v_add_f64 v[28:29], v[28:29], v[32:33]
	v_mul_f64 v[28:29], v[28:29], v[46:47]
	v_fmac_f64_e32 v[22:23], v[42:43], v[32:33]
	v_fmac_f64_e32 v[28:29], v[22:23], v[26:27]
	;; [unrolled: 1-line block ×3, first 2 shown]
	v_add_f64 v[0:1], v[0:1], v[28:29]
	v_pk_mov_b32 v[22:23], v[32:33], v[32:33] op_sel:[0,1]
	v_pk_mov_b32 v[14:15], v[34:35], v[34:35] op_sel:[0,1]
	;; [unrolled: 1-line block ×5, first 2 shown]
	s_waitcnt vmcnt(0)
	v_cmp_gt_i32_e32 vcc, 0, v31
	s_or_b64 s[22:23], vcc, s[22:23]
	s_andn2_b64 exec, exec, s[22:23]
	s_cbranch_execnz .LBB2_124
; %bb.125:
	s_or_b64 exec, exec, s[22:23]
.LBB2_126:
	s_or_b64 exec, exec, s[20:21]
.LBB2_127:
	s_or_b64 exec, exec, s[18:19]
	buffer_load_dword v8, off, s[0:3], 0 offset:2328 ; 4-byte Folded Reload
	buffer_load_dword v9, off, s[0:3], 0 offset:2332 ; 4-byte Folded Reload
	s_mov_b32 s5, 0x3fc55555
	s_mov_b32 s4, 0x55555555
	v_mul_f64 v[6:7], v[6:7], s[4:5]
	s_mov_b32 s5, 0x3fa55555
	v_mul_f64 v[0:1], v[0:1], s[4:5]
	v_accvgpr_read_b32 v10, a252
	v_accvgpr_read_b32 v11, a253
	v_mul_f64 v[2:3], v[2:3], s[4:5]
	v_mul_f64 v[4:5], v[4:5], s[4:5]
	v_accvgpr_read_b32 v34, a240            ;  Reload Reuse
	v_accvgpr_read_b32 v35, a239            ;  Reload Reuse
	s_waitcnt vmcnt(0)
	v_mul_f64 v[8:9], v[8:9], v[0:1]
	v_fmac_f64_e32 v[8:9], v[10:11], v[6:7]
	buffer_load_dword v10, off, s[0:3], 0 offset:2320 ; 4-byte Folded Reload
	buffer_load_dword v11, off, s[0:3], 0 offset:2324 ; 4-byte Folded Reload
	s_waitcnt vmcnt(0)
	v_fmac_f64_e32 v[8:9], v[10:11], v[2:3]
	buffer_load_dword v10, off, s[0:3], 0 offset:2272 ; 4-byte Folded Reload
	buffer_load_dword v11, off, s[0:3], 0 offset:2276 ; 4-byte Folded Reload
	;; [unrolled: 1-line block ×4, first 2 shown]
	s_waitcnt vmcnt(2)
	v_fmac_f64_e32 v[8:9], v[10:11], v[4:5]
	s_waitcnt vmcnt(0)
	v_mul_f64 v[8:9], v[12:13], v[8:9]
	v_add_f64 v[16:17], v[8:9], 0
	buffer_load_dword v8, off, s[0:3], 0 offset:2312 ; 4-byte Folded Reload
	buffer_load_dword v9, off, s[0:3], 0 offset:2316 ; 4-byte Folded Reload
	;; [unrolled: 1-line block ×8, first 2 shown]
	s_waitcnt vmcnt(6)
	v_mul_f64 v[8:9], v[8:9], v[0:1]
	s_waitcnt vmcnt(2)
	v_fmac_f64_e32 v[8:9], v[20:21], v[6:7]
	s_waitcnt vmcnt(0)
	v_fmac_f64_e32 v[8:9], v[10:11], v[2:3]
	buffer_load_dword v10, off, s[0:3], 0 offset:2344 ; 4-byte Folded Reload
	buffer_load_dword v11, off, s[0:3], 0 offset:2348 ; 4-byte Folded Reload
	s_waitcnt vmcnt(0)
	v_fmac_f64_e32 v[8:9], v[10:11], v[4:5]
	v_mul_f64 v[8:9], v[12:13], v[8:9]
	v_add_f64 v[18:19], v[8:9], 0
	buffer_load_dword v8, off, s[0:3], 0 offset:2296 ; 4-byte Folded Reload
	buffer_load_dword v9, off, s[0:3], 0 offset:2300 ; 4-byte Folded Reload
	s_waitcnt vmcnt(0)
	v_mul_f64 v[0:1], v[8:9], v[0:1]
	buffer_load_dword v8, off, s[0:3], 0 offset:2360 ; 4-byte Folded Reload
	buffer_load_dword v9, off, s[0:3], 0 offset:2364 ; 4-byte Folded Reload
	buffer_load_dword v10, off, s[0:3], 0 offset:2368 ; 4-byte Folded Reload
	buffer_load_dword v11, off, s[0:3], 0 offset:2372 ; 4-byte Folded Reload
	buffer_load_dword v8, off, s[0:3], 0 offset:2288 ; 4-byte Folded Reload
	buffer_load_dword v9, off, s[0:3], 0 offset:2292 ; 4-byte Folded Reload
	s_waitcnt vmcnt(2)
	v_fmac_f64_e32 v[0:1], v[10:11], v[6:7]
	s_waitcnt vmcnt(0)
	v_fmac_f64_e32 v[0:1], v[8:9], v[2:3]
	buffer_load_dword v2, off, s[0:3], 0 offset:2336 ; 4-byte Folded Reload
	buffer_load_dword v3, off, s[0:3], 0 offset:2340 ; 4-byte Folded Reload
	;; [unrolled: 1-line block ×3, first 2 shown]
	s_waitcnt vmcnt(0)
	v_accvgpr_read_b32 v25, a241            ;  Reload Reuse
	v_fmac_f64_e32 v[0:1], v[2:3], v[4:5]
	v_mul_f64 v[0:1], v[12:13], v[0:1]
	v_add_f64 v[20:21], v[0:1], 0
	v_mul_f64 v[0:1], v[12:13], v[6:7]
	v_add_f64 v[22:23], v[0:1], 0
.LBB2_128:
	s_or_b64 exec, exec, s[54:55]
	s_movk_i32 s6, 0x48
	v_mad_u64_u32 v[0:1], s[4:5], v24, s6, 0
	v_mov_b32_e32 v2, v1
	v_mad_u64_u32 v[2:3], s[4:5], v25, s6, v[2:3]
	v_and_b32_e32 v34, 0xffffffc0, v34
	v_mov_b32_e32 v1, v2
	v_pk_mov_b32 v[2:3], 0, 0
	v_cmp_gt_i64_e32 vcc, v[0:1], v[34:35]
	v_pk_mov_b32 v[0:1], v[22:23], v[22:23] op_sel:[0,1]
	v_pk_mov_b32 v[4:5], v[16:17], v[16:17] op_sel:[0,1]
	v_pk_mov_b32 v[6:7], v[18:19], v[18:19] op_sel:[0,1]
	v_pk_mov_b32 v[8:9], v[20:21], v[20:21] op_sel:[0,1]
	v_pk_mov_b32 v[10:11], v[2:3], v[2:3] op_sel:[0,1]
	v_pk_mov_b32 v[12:13], v[2:3], v[2:3] op_sel:[0,1]
	v_pk_mov_b32 v[14:15], v[2:3], v[2:3] op_sel:[0,1]
	s_and_saveexec_b64 s[4:5], vcc
; %bb.129:
	v_pk_mov_b32 v[0:1], 0, 0
	v_pk_mov_b32 v[4:5], v[0:1], v[0:1] op_sel:[0,1]
	v_pk_mov_b32 v[6:7], v[0:1], v[0:1] op_sel:[0,1]
	v_pk_mov_b32 v[8:9], v[0:1], v[0:1] op_sel:[0,1]
	v_pk_mov_b32 v[2:3], v[20:21], v[20:21] op_sel:[0,1]
	v_pk_mov_b32 v[10:11], v[18:19], v[18:19] op_sel:[0,1]
	v_pk_mov_b32 v[12:13], v[16:17], v[16:17] op_sel:[0,1]
	v_pk_mov_b32 v[14:15], v[22:23], v[22:23] op_sel:[0,1]
; %bb.130:
	s_or_b64 exec, exec, s[4:5]
	v_mbcnt_lo_u32_b32 v16, -1, 0
	v_mbcnt_hi_u32_b32 v16, -1, v16
	v_and_b32_e32 v17, 64, v16
	v_add_u32_e32 v17, 64, v17
	s_mov_b64 s[4:5], 1
	s_waitcnt lgkmcnt(0)
	; wave barrier
.LBB2_131:                              ; =>This Inner Loop Header: Depth=1
	v_xor_b32_e32 v18, s4, v16
	v_cmp_lt_i32_e32 vcc, v18, v17
	v_cndmask_b32_e32 v18, v16, v18, vcc
	v_lshlrev_b32_e32 v33, 2, v18
	ds_bpermute_b32 v18, v33, v14
	ds_bpermute_b32 v19, v33, v15
	;; [unrolled: 1-line block ×16, first 2 shown]
	s_lshl_b64 s[6:7], s[4:5], 1
	v_cmp_gt_u64_e64 s[4:5], s[4:5], 31
	s_and_b64 vcc, exec, s[4:5]
	s_mov_b64 s[4:5], s[6:7]
	s_waitcnt lgkmcnt(14)
	v_add_f64 v[14:15], v[14:15], v[18:19]
	s_waitcnt lgkmcnt(12)
	v_add_f64 v[12:13], v[12:13], v[20:21]
	;; [unrolled: 2-line block ×8, first 2 shown]
	s_cbranch_vccz .LBB2_131
; %bb.132:
	v_accvgpr_read_b32 v16, a238            ;  Reload Reuse
	v_and_b32_e32 v16, 63, v16
	v_mov_b32_e32 v17, 0
	v_cmp_eq_u64_e32 vcc, 0, v[16:17]
	s_and_saveexec_b64 s[4:5], vcc
	s_cbranch_execz .LBB2_134
; %bb.133:
	ds_write2_b64 v17, v[0:1], v[4:5] offset1:2
	ds_write2_b64 v17, v[6:7], v[8:9] offset0:4 offset1:6
	ds_write2_b64 v17, v[14:15], v[12:13] offset0:8 offset1:10
	;; [unrolled: 1-line block ×3, first 2 shown]
.LBB2_134:
	s_or_b64 exec, exec, s[4:5]
	v_cmp_gt_u64_e32 vcc, 8, v[16:17]
	s_waitcnt lgkmcnt(0)
	; wave barrier
	s_waitcnt lgkmcnt(0)
	s_and_b64 exec, exec, vcc
	s_cbranch_execz .LBB2_136
; %bb.135:
	v_mov_b32_e32 v0, s53
	v_add_co_u32_e32 v2, vcc, s52, v34
	v_addc_co_u32_e32 v3, vcc, v0, v35, vcc
	v_lshlrev_b32_e32 v0, 4, v16
	ds_read_b64 v[0:1], v0
	v_lshlrev_b32_e32 v4, 3, v16
	v_add_co_u32_e32 v2, vcc, v2, v4
	v_addc_co_u32_e32 v3, vcc, 0, v3, vcc
	s_waitcnt lgkmcnt(0)
	global_store_dwordx2 v[2:3], v[0:1], off
.LBB2_136:
	s_endpgm
	.section	.rodata,"a",@progbits
	.p2align	6, 0x0
	.amdhsa_kernel _ZN8rajaperf17lambda_hip_forallILm64EZNS_4apps12INTSC_HEXHEX17runHipVariantImplILm64EEEvNS_9VariantIDEEUllE_EEvllT0_
		.amdhsa_group_segment_fixed_size 128
		.amdhsa_private_segment_fixed_size 2400
		.amdhsa_kernarg_size 48
		.amdhsa_user_sgpr_count 8
		.amdhsa_user_sgpr_private_segment_buffer 1
		.amdhsa_user_sgpr_dispatch_ptr 0
		.amdhsa_user_sgpr_queue_ptr 0
		.amdhsa_user_sgpr_kernarg_segment_ptr 1
		.amdhsa_user_sgpr_dispatch_id 0
		.amdhsa_user_sgpr_flat_scratch_init 1
		.amdhsa_user_sgpr_kernarg_preload_length 0
		.amdhsa_user_sgpr_kernarg_preload_offset 0
		.amdhsa_user_sgpr_private_segment_size 0
		.amdhsa_uses_dynamic_stack 0
		.amdhsa_system_sgpr_private_segment_wavefront_offset 1
		.amdhsa_system_sgpr_workgroup_id_x 1
		.amdhsa_system_sgpr_workgroup_id_y 0
		.amdhsa_system_sgpr_workgroup_id_z 0
		.amdhsa_system_sgpr_workgroup_info 0
		.amdhsa_system_vgpr_workitem_id 0
		.amdhsa_next_free_vgpr 512
		.amdhsa_next_free_sgpr 58
		.amdhsa_accum_offset 256
		.amdhsa_reserve_vcc 1
		.amdhsa_reserve_flat_scratch 0
		.amdhsa_float_round_mode_32 0
		.amdhsa_float_round_mode_16_64 0
		.amdhsa_float_denorm_mode_32 3
		.amdhsa_float_denorm_mode_16_64 3
		.amdhsa_dx10_clamp 1
		.amdhsa_ieee_mode 1
		.amdhsa_fp16_overflow 0
		.amdhsa_tg_split 0
		.amdhsa_exception_fp_ieee_invalid_op 0
		.amdhsa_exception_fp_denorm_src 0
		.amdhsa_exception_fp_ieee_div_zero 0
		.amdhsa_exception_fp_ieee_overflow 0
		.amdhsa_exception_fp_ieee_underflow 0
		.amdhsa_exception_fp_ieee_inexact 0
		.amdhsa_exception_int_div_zero 0
	.end_amdhsa_kernel
	.section	.text._ZN8rajaperf17lambda_hip_forallILm64EZNS_4apps12INTSC_HEXHEX17runHipVariantImplILm64EEEvNS_9VariantIDEEUllE_EEvllT0_,"axG",@progbits,_ZN8rajaperf17lambda_hip_forallILm64EZNS_4apps12INTSC_HEXHEX17runHipVariantImplILm64EEEvNS_9VariantIDEEUllE_EEvllT0_,comdat
.Lfunc_end2:
	.size	_ZN8rajaperf17lambda_hip_forallILm64EZNS_4apps12INTSC_HEXHEX17runHipVariantImplILm64EEEvNS_9VariantIDEEUllE_EEvllT0_, .Lfunc_end2-_ZN8rajaperf17lambda_hip_forallILm64EZNS_4apps12INTSC_HEXHEX17runHipVariantImplILm64EEEvNS_9VariantIDEEUllE_EEvllT0_
                                        ; -- End function
	.section	.AMDGPU.csdata,"",@progbits
; Kernel info:
; codeLenInByte = 113692
; NumSgprs: 62
; NumVgprs: 256
; NumAgprs: 256
; TotalNumVgprs: 512
; ScratchSize: 2400
; MemoryBound: 0
; FloatMode: 240
; IeeeMode: 1
; LDSByteSize: 128 bytes/workgroup (compile time only)
; SGPRBlocks: 7
; VGPRBlocks: 63
; NumSGPRsForWavesPerEU: 62
; NumVGPRsForWavesPerEU: 512
; AccumOffset: 256
; Occupancy: 1
; WaveLimiterHint : 0
; COMPUTE_PGM_RSRC2:SCRATCH_EN: 1
; COMPUTE_PGM_RSRC2:USER_SGPR: 8
; COMPUTE_PGM_RSRC2:TRAP_HANDLER: 0
; COMPUTE_PGM_RSRC2:TGID_X_EN: 1
; COMPUTE_PGM_RSRC2:TGID_Y_EN: 0
; COMPUTE_PGM_RSRC2:TGID_Z_EN: 0
; COMPUTE_PGM_RSRC2:TIDIG_COMP_CNT: 0
; COMPUTE_PGM_RSRC3_GFX90A:ACCUM_OFFSET: 63
; COMPUTE_PGM_RSRC3_GFX90A:TG_SPLIT: 0
	.section	.text._ZN8rajaperf17lambda_hip_forallILm64EZNS_4apps12INTSC_HEXHEX17runHipVariantImplILm64EEEvNS_9VariantIDEEUllE0_EEvllT0_,"axG",@progbits,_ZN8rajaperf17lambda_hip_forallILm64EZNS_4apps12INTSC_HEXHEX17runHipVariantImplILm64EEEvNS_9VariantIDEEUllE0_EEvllT0_,comdat
	.protected	_ZN8rajaperf17lambda_hip_forallILm64EZNS_4apps12INTSC_HEXHEX17runHipVariantImplILm64EEEvNS_9VariantIDEEUllE0_EEvllT0_ ; -- Begin function _ZN8rajaperf17lambda_hip_forallILm64EZNS_4apps12INTSC_HEXHEX17runHipVariantImplILm64EEEvNS_9VariantIDEEUllE0_EEvllT0_
	.globl	_ZN8rajaperf17lambda_hip_forallILm64EZNS_4apps12INTSC_HEXHEX17runHipVariantImplILm64EEEvNS_9VariantIDEEUllE0_EEvllT0_
	.p2align	8
	.type	_ZN8rajaperf17lambda_hip_forallILm64EZNS_4apps12INTSC_HEXHEX17runHipVariantImplILm64EEEvNS_9VariantIDEEUllE0_EEvllT0_,@function
_ZN8rajaperf17lambda_hip_forallILm64EZNS_4apps12INTSC_HEXHEX17runHipVariantImplILm64EEEvNS_9VariantIDEEUllE0_EEvllT0_: ; @_ZN8rajaperf17lambda_hip_forallILm64EZNS_4apps12INTSC_HEXHEX17runHipVariantImplILm64EEEvNS_9VariantIDEEUllE0_EEvllT0_
; %bb.0:
	s_load_dwordx4 s[0:3], s[4:5], 0x0
	s_mov_b32 s7, 0
	s_lshl_b64 s[6:7], s[6:7], 6
	s_waitcnt lgkmcnt(0)
	s_add_u32 s0, s6, s0
	s_addc_u32 s1, s7, s1
	v_mov_b32_e32 v1, s1
	v_add_co_u32_e32 v4, vcc, s0, v0
	v_addc_co_u32_e32 v5, vcc, 0, v1, vcc
	v_cmp_gt_i64_e32 vcc, s[2:3], v[4:5]
	s_and_saveexec_b64 s[0:1], vcc
	s_cbranch_execz .LBB3_17
; %bb.1:
	s_load_dwordx4 s[8:11], s[4:5], 0x10
	s_load_dwordx2 s[0:1], s[4:5], 0x20
	v_lshlrev_b64 v[0:1], 8, v[4:5]
	s_movk_i32 s4, 0x240
	s_waitcnt lgkmcnt(0)
	v_mov_b32_e32 v2, s10
	v_mov_b32_e32 v3, s11
	;; [unrolled: 1-line block ×3, first 2 shown]
	v_add_co_u32_e32 v0, vcc, s8, v0
	v_mad_u64_u32 v[2:3], s[2:3], v4, s4, v[2:3]
	v_addc_co_u32_e32 v1, vcc, v6, v1, vcc
	v_mov_b32_e32 v6, v3
	v_mad_u64_u32 v[6:7], s[2:3], v5, s4, v[6:7]
	v_lshlrev_b64 v[4:5], 3, v[4:5]
	v_mov_b32_e32 v3, v6
	v_cmp_gt_u64_e32 vcc, s[0:1], v[4:5]
	s_and_saveexec_b64 s[2:3], vcc
	s_cbranch_execz .LBB3_3
; %bb.2:
	global_load_dwordx2 v[6:7], v[2:3], off
	global_load_dwordx2 v[8:9], v[2:3], off offset:64
	s_waitcnt vmcnt(0)
	v_add_f64 v[6:7], v[6:7], v[8:9]
	global_store_dwordx2 v[0:1], v[6:7], off
	global_load_dwordx2 v[6:7], v[2:3], off offset:8
	s_nop 0
	global_load_dwordx2 v[8:9], v[2:3], off offset:72
	s_waitcnt vmcnt(0)
	v_add_f64 v[6:7], v[6:7], v[8:9]
	global_store_dwordx2 v[0:1], v[6:7], off offset:8
	global_load_dwordx2 v[6:7], v[2:3], off offset:16
	s_nop 0
	global_load_dwordx2 v[8:9], v[2:3], off offset:80
	s_waitcnt vmcnt(0)
	v_add_f64 v[6:7], v[6:7], v[8:9]
	global_store_dwordx2 v[0:1], v[6:7], off offset:16
	;; [unrolled: 6-line block ×3, first 2 shown]
.LBB3_3:
	s_or_b64 exec, exec, s[2:3]
	v_or_b32_e32 v6, 1, v4
	v_mov_b32_e32 v7, v5
	v_cmp_gt_u64_e32 vcc, s[0:1], v[6:7]
	s_and_saveexec_b64 s[2:3], vcc
	s_cbranch_execz .LBB3_5
; %bb.4:
	global_load_dwordx2 v[6:7], v[2:3], off offset:96
	global_load_dwordx2 v[8:9], v[2:3], off offset:128
	s_waitcnt vmcnt(0)
	v_add_f64 v[6:7], v[6:7], v[8:9]
	global_store_dwordx2 v[0:1], v[6:7], off offset:32
	global_load_dwordx2 v[6:7], v[2:3], off offset:104
	s_nop 0
	global_load_dwordx2 v[8:9], v[2:3], off offset:136
	s_waitcnt vmcnt(0)
	v_add_f64 v[6:7], v[6:7], v[8:9]
	global_store_dwordx2 v[0:1], v[6:7], off offset:40
	global_load_dwordx2 v[6:7], v[2:3], off offset:112
	s_nop 0
	global_load_dwordx2 v[8:9], v[2:3], off offset:144
	s_waitcnt vmcnt(0)
	v_add_f64 v[6:7], v[6:7], v[8:9]
	global_store_dwordx2 v[0:1], v[6:7], off offset:48
	global_load_dwordx2 v[6:7], v[2:3], off offset:120
	s_nop 0
	global_load_dwordx2 v[8:9], v[2:3], off offset:152
	s_waitcnt vmcnt(0)
	v_add_f64 v[6:7], v[6:7], v[8:9]
	global_store_dwordx2 v[0:1], v[6:7], off offset:56
.LBB3_5:
	s_or_b64 exec, exec, s[2:3]
	v_or_b32_e32 v6, 2, v4
	v_mov_b32_e32 v7, v5
	v_cmp_gt_u64_e32 vcc, s[0:1], v[6:7]
	s_and_saveexec_b64 s[2:3], vcc
	s_cbranch_execz .LBB3_7
; %bb.6:
	global_load_dwordx2 v[6:7], v[2:3], off offset:160
	global_load_dwordx2 v[8:9], v[2:3], off offset:192
	s_waitcnt vmcnt(0)
	v_add_f64 v[6:7], v[6:7], v[8:9]
	global_store_dwordx2 v[0:1], v[6:7], off offset:64
	global_load_dwordx2 v[6:7], v[2:3], off offset:168
	s_nop 0
	global_load_dwordx2 v[8:9], v[2:3], off offset:200
	s_waitcnt vmcnt(0)
	v_add_f64 v[6:7], v[6:7], v[8:9]
	global_store_dwordx2 v[0:1], v[6:7], off offset:72
	global_load_dwordx2 v[6:7], v[2:3], off offset:176
	s_nop 0
	global_load_dwordx2 v[8:9], v[2:3], off offset:208
	s_waitcnt vmcnt(0)
	v_add_f64 v[6:7], v[6:7], v[8:9]
	global_store_dwordx2 v[0:1], v[6:7], off offset:80
	global_load_dwordx2 v[6:7], v[2:3], off offset:184
	s_nop 0
	global_load_dwordx2 v[8:9], v[2:3], off offset:216
	s_waitcnt vmcnt(0)
	v_add_f64 v[6:7], v[6:7], v[8:9]
	global_store_dwordx2 v[0:1], v[6:7], off offset:88
.LBB3_7:
	;; [unrolled: 31-line block ×6, first 2 shown]
	s_or_b64 exec, exec, s[2:3]
	v_or_b32_e32 v4, 7, v4
	v_cmp_gt_u64_e32 vcc, s[0:1], v[4:5]
	s_and_b64 exec, exec, vcc
	s_cbranch_execz .LBB3_17
; %bb.16:
	global_load_dwordx2 v[4:5], v[2:3], off offset:480
	global_load_dwordx2 v[6:7], v[2:3], off offset:512
	s_waitcnt vmcnt(0)
	v_add_f64 v[4:5], v[4:5], v[6:7]
	global_store_dwordx2 v[0:1], v[4:5], off offset:224
	global_load_dwordx2 v[4:5], v[2:3], off offset:488
	s_nop 0
	global_load_dwordx2 v[6:7], v[2:3], off offset:520
	s_waitcnt vmcnt(0)
	v_add_f64 v[4:5], v[4:5], v[6:7]
	global_store_dwordx2 v[0:1], v[4:5], off offset:232
	global_load_dwordx2 v[4:5], v[2:3], off offset:496
	s_nop 0
	;; [unrolled: 6-line block ×3, first 2 shown]
	global_load_dwordx2 v[6:7], v[2:3], off offset:536
	s_waitcnt vmcnt(0)
	v_add_f64 v[2:3], v[4:5], v[6:7]
	global_store_dwordx2 v[0:1], v[2:3], off offset:248
.LBB3_17:
	s_endpgm
	.section	.rodata,"a",@progbits
	.p2align	6, 0x0
	.amdhsa_kernel _ZN8rajaperf17lambda_hip_forallILm64EZNS_4apps12INTSC_HEXHEX17runHipVariantImplILm64EEEvNS_9VariantIDEEUllE0_EEvllT0_
		.amdhsa_group_segment_fixed_size 0
		.amdhsa_private_segment_fixed_size 0
		.amdhsa_kernarg_size 40
		.amdhsa_user_sgpr_count 6
		.amdhsa_user_sgpr_private_segment_buffer 1
		.amdhsa_user_sgpr_dispatch_ptr 0
		.amdhsa_user_sgpr_queue_ptr 0
		.amdhsa_user_sgpr_kernarg_segment_ptr 1
		.amdhsa_user_sgpr_dispatch_id 0
		.amdhsa_user_sgpr_flat_scratch_init 0
		.amdhsa_user_sgpr_kernarg_preload_length 0
		.amdhsa_user_sgpr_kernarg_preload_offset 0
		.amdhsa_user_sgpr_private_segment_size 0
		.amdhsa_uses_dynamic_stack 0
		.amdhsa_system_sgpr_private_segment_wavefront_offset 0
		.amdhsa_system_sgpr_workgroup_id_x 1
		.amdhsa_system_sgpr_workgroup_id_y 0
		.amdhsa_system_sgpr_workgroup_id_z 0
		.amdhsa_system_sgpr_workgroup_info 0
		.amdhsa_system_vgpr_workitem_id 0
		.amdhsa_next_free_vgpr 10
		.amdhsa_next_free_sgpr 12
		.amdhsa_accum_offset 12
		.amdhsa_reserve_vcc 1
		.amdhsa_reserve_flat_scratch 0
		.amdhsa_float_round_mode_32 0
		.amdhsa_float_round_mode_16_64 0
		.amdhsa_float_denorm_mode_32 3
		.amdhsa_float_denorm_mode_16_64 3
		.amdhsa_dx10_clamp 1
		.amdhsa_ieee_mode 1
		.amdhsa_fp16_overflow 0
		.amdhsa_tg_split 0
		.amdhsa_exception_fp_ieee_invalid_op 0
		.amdhsa_exception_fp_denorm_src 0
		.amdhsa_exception_fp_ieee_div_zero 0
		.amdhsa_exception_fp_ieee_overflow 0
		.amdhsa_exception_fp_ieee_underflow 0
		.amdhsa_exception_fp_ieee_inexact 0
		.amdhsa_exception_int_div_zero 0
	.end_amdhsa_kernel
	.section	.text._ZN8rajaperf17lambda_hip_forallILm64EZNS_4apps12INTSC_HEXHEX17runHipVariantImplILm64EEEvNS_9VariantIDEEUllE0_EEvllT0_,"axG",@progbits,_ZN8rajaperf17lambda_hip_forallILm64EZNS_4apps12INTSC_HEXHEX17runHipVariantImplILm64EEEvNS_9VariantIDEEUllE0_EEvllT0_,comdat
.Lfunc_end3:
	.size	_ZN8rajaperf17lambda_hip_forallILm64EZNS_4apps12INTSC_HEXHEX17runHipVariantImplILm64EEEvNS_9VariantIDEEUllE0_EEvllT0_, .Lfunc_end3-_ZN8rajaperf17lambda_hip_forallILm64EZNS_4apps12INTSC_HEXHEX17runHipVariantImplILm64EEEvNS_9VariantIDEEUllE0_EEvllT0_
                                        ; -- End function
	.section	.AMDGPU.csdata,"",@progbits
; Kernel info:
; codeLenInByte = 1564
; NumSgprs: 16
; NumVgprs: 10
; NumAgprs: 0
; TotalNumVgprs: 10
; ScratchSize: 0
; MemoryBound: 1
; FloatMode: 240
; IeeeMode: 1
; LDSByteSize: 0 bytes/workgroup (compile time only)
; SGPRBlocks: 1
; VGPRBlocks: 1
; NumSGPRsForWavesPerEU: 16
; NumVGPRsForWavesPerEU: 10
; AccumOffset: 12
; Occupancy: 8
; WaveLimiterHint : 1
; COMPUTE_PGM_RSRC2:SCRATCH_EN: 0
; COMPUTE_PGM_RSRC2:USER_SGPR: 6
; COMPUTE_PGM_RSRC2:TRAP_HANDLER: 0
; COMPUTE_PGM_RSRC2:TGID_X_EN: 1
; COMPUTE_PGM_RSRC2:TGID_Y_EN: 0
; COMPUTE_PGM_RSRC2:TGID_Z_EN: 0
; COMPUTE_PGM_RSRC2:TIDIG_COMP_CNT: 0
; COMPUTE_PGM_RSRC3_GFX90A:ACCUM_OFFSET: 2
; COMPUTE_PGM_RSRC3_GFX90A:TG_SPLIT: 0
	.section	.text._ZN4RAJA6policy3hip4impl18forallp_hip_kernelINS1_8hip_execINS_17iteration_mapping6DirectENS_3hip11IndexGlobalILNS_9named_dimE0ELi64ELi0EEENS7_40AvoidDeviceMaxThreadOccupancyConcretizerINS7_34FractionOffsetOccupancyConcretizerINS_8FractionImLm1ELm1EEELln1EEEEELb1EEENS_9Iterators16numeric_iteratorIllPlEEZN8rajaperf4apps12INTSC_HEXHEX17runHipVariantImplILm64EEEvNSM_9VariantIDEEUllE1_lNS_4expt15ForallParamPackIJEEES6_SA_TnNSt9enable_ifIXaasr3std10is_base_ofINS5_10DirectBaseET4_EE5valuegtsrT5_10block_sizeLi0EEmE4typeELm64EEEvT1_T0_T2_T3_,"axG",@progbits,_ZN4RAJA6policy3hip4impl18forallp_hip_kernelINS1_8hip_execINS_17iteration_mapping6DirectENS_3hip11IndexGlobalILNS_9named_dimE0ELi64ELi0EEENS7_40AvoidDeviceMaxThreadOccupancyConcretizerINS7_34FractionOffsetOccupancyConcretizerINS_8FractionImLm1ELm1EEELln1EEEEELb1EEENS_9Iterators16numeric_iteratorIllPlEEZN8rajaperf4apps12INTSC_HEXHEX17runHipVariantImplILm64EEEvNSM_9VariantIDEEUllE1_lNS_4expt15ForallParamPackIJEEES6_SA_TnNSt9enable_ifIXaasr3std10is_base_ofINS5_10DirectBaseET4_EE5valuegtsrT5_10block_sizeLi0EEmE4typeELm64EEEvT1_T0_T2_T3_,comdat
	.protected	_ZN4RAJA6policy3hip4impl18forallp_hip_kernelINS1_8hip_execINS_17iteration_mapping6DirectENS_3hip11IndexGlobalILNS_9named_dimE0ELi64ELi0EEENS7_40AvoidDeviceMaxThreadOccupancyConcretizerINS7_34FractionOffsetOccupancyConcretizerINS_8FractionImLm1ELm1EEELln1EEEEELb1EEENS_9Iterators16numeric_iteratorIllPlEEZN8rajaperf4apps12INTSC_HEXHEX17runHipVariantImplILm64EEEvNSM_9VariantIDEEUllE1_lNS_4expt15ForallParamPackIJEEES6_SA_TnNSt9enable_ifIXaasr3std10is_base_ofINS5_10DirectBaseET4_EE5valuegtsrT5_10block_sizeLi0EEmE4typeELm64EEEvT1_T0_T2_T3_ ; -- Begin function _ZN4RAJA6policy3hip4impl18forallp_hip_kernelINS1_8hip_execINS_17iteration_mapping6DirectENS_3hip11IndexGlobalILNS_9named_dimE0ELi64ELi0EEENS7_40AvoidDeviceMaxThreadOccupancyConcretizerINS7_34FractionOffsetOccupancyConcretizerINS_8FractionImLm1ELm1EEELln1EEEEELb1EEENS_9Iterators16numeric_iteratorIllPlEEZN8rajaperf4apps12INTSC_HEXHEX17runHipVariantImplILm64EEEvNSM_9VariantIDEEUllE1_lNS_4expt15ForallParamPackIJEEES6_SA_TnNSt9enable_ifIXaasr3std10is_base_ofINS5_10DirectBaseET4_EE5valuegtsrT5_10block_sizeLi0EEmE4typeELm64EEEvT1_T0_T2_T3_
	.globl	_ZN4RAJA6policy3hip4impl18forallp_hip_kernelINS1_8hip_execINS_17iteration_mapping6DirectENS_3hip11IndexGlobalILNS_9named_dimE0ELi64ELi0EEENS7_40AvoidDeviceMaxThreadOccupancyConcretizerINS7_34FractionOffsetOccupancyConcretizerINS_8FractionImLm1ELm1EEELln1EEEEELb1EEENS_9Iterators16numeric_iteratorIllPlEEZN8rajaperf4apps12INTSC_HEXHEX17runHipVariantImplILm64EEEvNSM_9VariantIDEEUllE1_lNS_4expt15ForallParamPackIJEEES6_SA_TnNSt9enable_ifIXaasr3std10is_base_ofINS5_10DirectBaseET4_EE5valuegtsrT5_10block_sizeLi0EEmE4typeELm64EEEvT1_T0_T2_T3_
	.p2align	8
	.type	_ZN4RAJA6policy3hip4impl18forallp_hip_kernelINS1_8hip_execINS_17iteration_mapping6DirectENS_3hip11IndexGlobalILNS_9named_dimE0ELi64ELi0EEENS7_40AvoidDeviceMaxThreadOccupancyConcretizerINS7_34FractionOffsetOccupancyConcretizerINS_8FractionImLm1ELm1EEELln1EEEEELb1EEENS_9Iterators16numeric_iteratorIllPlEEZN8rajaperf4apps12INTSC_HEXHEX17runHipVariantImplILm64EEEvNSM_9VariantIDEEUllE1_lNS_4expt15ForallParamPackIJEEES6_SA_TnNSt9enable_ifIXaasr3std10is_base_ofINS5_10DirectBaseET4_EE5valuegtsrT5_10block_sizeLi0EEmE4typeELm64EEEvT1_T0_T2_T3_,@function
_ZN4RAJA6policy3hip4impl18forallp_hip_kernelINS1_8hip_execINS_17iteration_mapping6DirectENS_3hip11IndexGlobalILNS_9named_dimE0ELi64ELi0EEENS7_40AvoidDeviceMaxThreadOccupancyConcretizerINS7_34FractionOffsetOccupancyConcretizerINS_8FractionImLm1ELm1EEELln1EEEEELb1EEENS_9Iterators16numeric_iteratorIllPlEEZN8rajaperf4apps12INTSC_HEXHEX17runHipVariantImplILm64EEEvNSM_9VariantIDEEUllE1_lNS_4expt15ForallParamPackIJEEES6_SA_TnNSt9enable_ifIXaasr3std10is_base_ofINS5_10DirectBaseET4_EE5valuegtsrT5_10block_sizeLi0EEmE4typeELm64EEEvT1_T0_T2_T3_: ; @_ZN4RAJA6policy3hip4impl18forallp_hip_kernelINS1_8hip_execINS_17iteration_mapping6DirectENS_3hip11IndexGlobalILNS_9named_dimE0ELi64ELi0EEENS7_40AvoidDeviceMaxThreadOccupancyConcretizerINS7_34FractionOffsetOccupancyConcretizerINS_8FractionImLm1ELm1EEELln1EEEEELb1EEENS_9Iterators16numeric_iteratorIllPlEEZN8rajaperf4apps12INTSC_HEXHEX17runHipVariantImplILm64EEEvNSM_9VariantIDEEUllE1_lNS_4expt15ForallParamPackIJEEES6_SA_TnNSt9enable_ifIXaasr3std10is_base_ofINS5_10DirectBaseET4_EE5valuegtsrT5_10block_sizeLi0EEmE4typeELm64EEEvT1_T0_T2_T3_
; %bb.0:
	s_load_dwordx8 s[12:19], s[4:5], 0x10
	s_add_u32 s0, s0, s9
	s_mov_b32 s9, 0
	s_addc_u32 s1, s1, 0
	s_lshl_b64 s[6:7], s[8:9], 6
	v_or_b32_e32 v0, s6, v0
	v_mov_b32_e32 v1, s7
	s_waitcnt lgkmcnt(0)
	v_cmp_gt_i64_e32 vcc, s[18:19], v[0:1]
	s_and_saveexec_b64 s[6:7], vcc
	s_cbranch_execz .LBB4_136
; %bb.1:
	s_load_dwordx4 s[52:55], s[4:5], 0x0
	s_add_u32 s4, 0, 0x8e389f80
	s_addc_u32 s5, 0, 15
	s_add_i32 s5, s5, 0x38e38d4
	s_mul_hi_u32 s9, s4, 0xffffffb8
	s_mul_i32 s10, s5, 0xffffffb8
	s_add_i32 s9, s9, s10
	s_mul_i32 s6, s4, 0xffffffb8
	s_sub_i32 s9, s9, s4
	s_mul_hi_u32 s7, s5, s6
	s_mul_i32 s8, s5, s6
	s_mul_i32 s11, s4, s9
	s_mul_hi_u32 s6, s4, s6
	s_mul_hi_u32 s10, s4, s9
	s_add_u32 s6, s6, s11
	s_addc_u32 s10, 0, s10
	s_add_u32 s6, s6, s8
	s_mul_hi_u32 s11, s5, s9
	s_addc_u32 s6, s10, s7
	s_addc_u32 s7, s11, 0
	s_mul_i32 s8, s5, s9
	v_mov_b32_e32 v2, s17
	v_add_co_u32_e32 v36, vcc, s16, v0
	s_add_u32 s6, s6, s8
	v_addc_co_u32_e32 v13, vcc, v1, v2, vcc
	v_mov_b32_e32 v0, s6
	s_addc_u32 s7, 0, s7
	v_add_co_u32_e32 v3, vcc, s4, v0
	v_ashrrev_i32_e32 v0, 31, v13
	s_cmp_lg_u64 vcc, 0
	v_add_co_u32_e32 v2, vcc, v36, v0
	s_addc_u32 s6, s5, s7
	v_xor_b32_e32 v2, v2, v0
	v_addc_co_u32_e32 v1, vcc, v13, v0, vcc
	v_mad_u64_u32 v[4:5], s[4:5], v2, s6, 0
	v_mul_hi_u32 v6, v2, v3
	v_xor_b32_e32 v1, v1, v0
	v_add_co_u32_e32 v8, vcc, v6, v4
	v_addc_co_u32_e32 v9, vcc, 0, v5, vcc
	v_mad_u64_u32 v[6:7], s[4:5], v1, v3, 0
	v_add_co_u32_e32 v3, vcc, v8, v6
	v_mad_u64_u32 v[4:5], s[4:5], v1, s6, 0
	v_addc_co_u32_e32 v3, vcc, v9, v7, vcc
	v_addc_co_u32_e32 v5, vcc, 0, v5, vcc
	v_add_co_u32_e32 v3, vcc, v3, v4
	s_movk_i32 s6, 0x48
	v_addc_co_u32_e32 v8, vcc, 0, v5, vcc
	v_mad_u64_u32 v[4:5], s[4:5], v3, s6, 0
	v_mov_b32_e32 v6, v5
	v_mad_u64_u32 v[6:7], s[4:5], v8, s6, v[6:7]
	v_sub_co_u32_e32 v4, vcc, v2, v4
	v_subb_co_u32_e32 v5, vcc, v1, v6, vcc
	v_subrev_co_u32_e32 v6, vcc, 0x48, v4
	v_subbrev_co_u32_e32 v7, vcc, 0, v5, vcc
	s_movk_i32 s4, 0x47
	v_cmp_lt_u32_e32 vcc, s4, v6
	v_cndmask_b32_e64 v6, 0, -1, vcc
	v_cmp_eq_u32_e32 vcc, 0, v7
	v_cndmask_b32_e32 v6, -1, v6, vcc
	v_add_co_u32_e32 v7, vcc, 2, v3
	v_addc_co_u32_e32 v9, vcc, 0, v8, vcc
	v_add_co_u32_e32 v10, vcc, 1, v3
	v_cmp_lt_u32_e64 s[4:5], s4, v4
	v_addc_co_u32_e32 v11, vcc, 0, v8, vcc
	v_cndmask_b32_e64 v4, 0, -1, s[4:5]
	v_cmp_eq_u32_e64 s[4:5], 0, v5
	v_cmp_ne_u32_e32 vcc, 0, v6
	v_cndmask_b32_e64 v4, -1, v4, s[4:5]
	v_cmp_ne_u32_e64 s[4:5], 0, v4
	v_cndmask_b32_e32 v5, v10, v7, vcc
	v_cndmask_b32_e32 v6, v11, v9, vcc
	v_cndmask_b32_e64 v3, v3, v5, s[4:5]
	v_cndmask_b32_e64 v4, v8, v6, s[4:5]
	v_xor_b32_e32 v3, v3, v0
	v_xor_b32_e32 v4, v4, v0
	v_sub_co_u32_e32 v16, vcc, v3, v0
	v_subb_co_u32_e32 v17, vcc, v4, v0, vcc
	v_pk_mov_b32 v[22:23], 0, 0
	s_waitcnt lgkmcnt(0)
	v_cmp_gt_u64_e32 vcc, s[54:55], v[16:17]
	v_pk_mov_b32 v[20:21], v[22:23], v[22:23] op_sel:[0,1]
	v_pk_mov_b32 v[18:19], v[22:23], v[22:23] op_sel:[0,1]
	v_pk_mov_b32 v[24:25], v[22:23], v[22:23] op_sel:[0,1]
	s_and_saveexec_b64 s[54:55], vcc
	s_cbranch_execz .LBB4_128
; %bb.2:
	s_mov_b32 s6, 0xaaaaaaaa
	s_mov_b32 s7, 0x2aaaaaaa
	v_mad_u64_u32 v[6:7], s[4:5], v2, s7, 0
	v_mul_hi_u32 v3, v2, s6
	v_add_co_u32_e32 v3, vcc, v3, v6
	v_mad_u64_u32 v[4:5], s[4:5], v1, s6, 0
	v_addc_co_u32_e32 v8, vcc, 0, v7, vcc
	v_add_co_u32_e32 v3, vcc, v3, v4
	v_mad_u64_u32 v[6:7], s[4:5], v1, s7, 0
	v_addc_co_u32_e32 v3, vcc, v8, v5, vcc
	v_addc_co_u32_e32 v4, vcc, 0, v7, vcc
	v_add_co_u32_e32 v3, vcc, v3, v6
	v_addc_co_u32_e32 v8, vcc, 0, v4, vcc
	v_mad_u64_u32 v[4:5], s[4:5], v3, 6, 0
	v_mov_b32_e32 v6, v5
	v_mad_u64_u32 v[6:7], s[4:5], v8, 6, v[6:7]
	v_sub_co_u32_e32 v2, vcc, v2, v4
	v_subb_co_u32_e32 v1, vcc, v1, v6, vcc
	v_subrev_co_u32_e32 v4, vcc, 6, v2
	v_subbrev_co_u32_e32 v5, vcc, 0, v1, vcc
	v_cmp_lt_u32_e32 vcc, 5, v4
	v_cndmask_b32_e64 v4, 0, -1, vcc
	v_cmp_eq_u32_e32 vcc, 0, v5
	v_cndmask_b32_e32 v4, -1, v4, vcc
	v_add_co_u32_e32 v5, vcc, 2, v3
	v_addc_co_u32_e32 v6, vcc, 0, v8, vcc
	v_add_co_u32_e32 v7, vcc, 1, v3
	v_cmp_lt_u32_e64 s[4:5], 5, v2
	v_addc_co_u32_e32 v9, vcc, 0, v8, vcc
	v_cndmask_b32_e64 v2, 0, -1, s[4:5]
	v_cmp_eq_u32_e64 s[4:5], 0, v1
	v_cmp_ne_u32_e32 vcc, 0, v4
	v_cndmask_b32_e64 v1, -1, v2, s[4:5]
	v_cndmask_b32_e32 v4, v9, v6, vcc
	v_cmp_ne_u32_e64 s[4:5], 0, v1
	v_cndmask_b32_e32 v2, v7, v5, vcc
	v_cndmask_b32_e64 v1, v8, v4, s[4:5]
	v_cndmask_b32_e64 v2, v3, v2, s[4:5]
	s_add_u32 s4, 0, 0x55540000
	s_addc_u32 s5, 0, 0x55
	s_or_b32 s7, s5, 0x15555500
	s_mul_hi_u32 s9, s4, -12
	s_mul_i32 s10, s7, -12
	s_add_i32 s9, s9, s10
	s_mul_i32 s6, s4, -12
	s_sub_i32 s9, s9, s4
	s_mul_hi_u32 s5, s7, s6
	s_mul_i32 s8, s7, s6
	s_mul_i32 s11, s4, s9
	s_mul_hi_u32 s6, s4, s6
	s_mul_hi_u32 s10, s4, s9
	s_add_u32 s6, s6, s11
	v_xor_b32_e32 v2, v2, v0
	s_addc_u32 s10, 0, s10
	v_xor_b32_e32 v1, v1, v0
	v_sub_co_u32_e32 v9, vcc, v2, v0
	s_add_u32 s6, s6, s8
	v_subb_co_u32_e32 v8, vcc, v1, v0, vcc
	s_mul_hi_u32 s11, s7, s9
	s_addc_u32 s5, s10, s5
	v_ashrrev_i32_e32 v4, 31, v8
	s_addc_u32 s6, s11, 0
	s_mul_i32 s8, s7, s9
	v_add_co_u32_e32 v0, vcc, v9, v4
	s_add_u32 s5, s5, s8
	v_addc_co_u32_e32 v1, vcc, v8, v4, vcc
	v_xor_b32_e32 v6, v0, v4
	v_mov_b32_e32 v0, s5
	s_addc_u32 s6, 0, s6
	v_add_co_u32_e32 v7, vcc, s4, v0
	s_cmp_lg_u64 vcc, 0
	v_xor_b32_e32 v5, v1, v4
	s_addc_u32 s6, s7, s6
	v_mad_u64_u32 v[0:1], s[4:5], v5, v7, 0
	v_mad_u64_u32 v[2:3], s[4:5], v6, s6, 0
	v_mul_hi_u32 v7, v6, v7
	v_add_co_u32_e32 v7, vcc, v7, v2
	v_addc_co_u32_e32 v10, vcc, 0, v3, vcc
	v_add_co_u32_e32 v0, vcc, v7, v0
	v_mad_u64_u32 v[2:3], s[4:5], v5, s6, 0
	v_addc_co_u32_e32 v0, vcc, v10, v1, vcc
	v_addc_co_u32_e32 v1, vcc, 0, v3, vcc
	v_add_co_u32_e32 v0, vcc, v0, v2
	v_addc_co_u32_e32 v3, vcc, 0, v1, vcc
	v_mad_u64_u32 v[0:1], s[4:5], v0, 12, 0
	v_mov_b32_e32 v2, v1
	v_mad_u64_u32 v[2:3], s[4:5], v3, 12, v[2:3]
	v_sub_co_u32_e32 v0, vcc, v6, v0
	v_subb_co_u32_e32 v1, vcc, v5, v2, vcc
	v_subrev_co_u32_e32 v2, vcc, 12, v0
	v_subbrev_co_u32_e32 v3, vcc, 0, v1, vcc
	v_subrev_co_u32_e32 v5, vcc, 12, v2
	v_subbrev_co_u32_e32 v6, vcc, 0, v3, vcc
	v_cmp_lt_u32_e32 vcc, 11, v2
	v_cndmask_b32_e64 v7, 0, -1, vcc
	v_cmp_eq_u32_e32 vcc, 0, v3
	v_cndmask_b32_e32 v7, -1, v7, vcc
	v_cmp_ne_u32_e32 vcc, 0, v7
	v_cmp_lt_u32_e64 s[4:5], 11, v0
	v_cndmask_b32_e32 v3, v3, v6, vcc
	v_cndmask_b32_e64 v6, 0, -1, s[4:5]
	v_cmp_eq_u32_e64 s[4:5], 0, v1
	v_cndmask_b32_e64 v6, -1, v6, s[4:5]
	v_cmp_ne_u32_e64 s[4:5], 0, v6
	v_cndmask_b32_e32 v2, v2, v5, vcc
	v_cndmask_b32_e64 v0, v0, v2, s[4:5]
	v_cndmask_b32_e64 v1, v1, v3, s[4:5]
	v_xor_b32_e32 v0, v0, v4
	v_xor_b32_e32 v1, v1, v4
	v_sub_co_u32_e32 v6, vcc, v0, v4
	v_subb_co_u32_e32 v7, vcc, v1, v4, vcc
	v_cmp_lt_i64_e32 vcc, 5, v[6:7]
                                        ; implicit-def: $sgpr4_sgpr5
                                        ; implicit-def: $vgpr4_vgpr5
                                        ; implicit-def: $vgpr2_vgpr3
	s_and_saveexec_b64 s[6:7], vcc
	s_xor_b64 s[6:7], exec, s[6:7]
; %bb.3:
	v_sub_co_u32_e32 v4, vcc, 12, v6
	v_subb_co_u32_e32 v5, vcc, 0, v7, vcc
	v_sub_co_u32_e32 v2, vcc, 11, v6
	v_subb_co_u32_e32 v3, vcc, 0, v7, vcc
	s_mov_b64 s[4:5], 7
                                        ; implicit-def: $vgpr6
; %bb.4:
	s_or_saveexec_b64 s[6:7], s[6:7]
	v_pk_mov_b32 v[0:1], s[4:5], s[4:5] op_sel:[0,1]
	s_xor_b64 exec, exec, s[6:7]
; %bb.5:
	v_add_co_u32_e32 v2, vcc, 1, v6
	v_addc_co_u32_e32 v3, vcc, 0, v7, vcc
	v_pk_mov_b32 v[0:1], 0, 0
	v_pk_mov_b32 v[4:5], v[6:7], v[6:7] op_sel:[0,1]
; %bb.6:
	s_or_b64 exec, exec, s[6:7]
	v_mad_u64_u32 v[6:7], s[4:5], v9, 6, 0
	v_lshlrev_b64 v[4:5], 2, v[4:5]
	s_getpc_b64 s[4:5]
	s_add_u32 s4, s4, __const._ZN8rajaperf14hex_intsc_subzEPKdS1_iiRdS2_S2_S2_.cyc_nod@rel32@lo+4
	s_addc_u32 s5, s5, __const._ZN8rajaperf14hex_intsc_subzEPKdS1_iiRdS2_S2_S2_.cyc_nod@rel32@hi+12
	v_mov_b32_e32 v10, v7
	v_mov_b32_e32 v7, s5
	v_add_co_u32_e32 v4, vcc, s4, v4
	v_lshlrev_b64 v[2:3], 2, v[2:3]
	v_addc_co_u32_e32 v5, vcc, v5, v7, vcc
	v_add_co_u32_e32 v2, vcc, s4, v2
	v_addc_co_u32_e32 v3, vcc, v3, v7, vcc
	global_load_dword v12, v[4:5], off
	global_load_dword v14, v[2:3], off
	v_mad_u64_u32 v[2:3], s[4:5], v8, 6, v[10:11]
	v_mov_b32_e32 v3, v2
	v_mov_b32_e32 v2, v36
	v_accvgpr_write_b32 a251, v2            ;  Reload Reuse
	v_accvgpr_write_b32 a250, v3            ;  Reload Reuse
	v_sub_co_u32_e32 v2, vcc, v36, v6
	v_mov_b32_e32 v5, v13
	v_accvgpr_write_b32 a253, v4            ;  Reload Reuse
	v_subb_co_u32_e32 v3, vcc, v13, v3, vcc
	v_accvgpr_write_b32 a252, v5            ;  Reload Reuse
	v_lshlrev_b64 v[4:5], 2, v[2:3]
	s_getpc_b64 s[4:5]
	s_add_u32 s4, s4, __const._ZN8rajaperf14hex_intsc_subzEPKdS1_iiRdS2_S2_S2_.vert_cyc@rel32@lo+4
	s_addc_u32 s5, s5, __const._ZN8rajaperf14hex_intsc_subzEPKdS1_iiRdS2_S2_S2_.vert_cyc@rel32@hi+12
	v_mov_b32_e32 v6, s5
	v_add_co_u32_e32 v4, vcc, s4, v4
	v_addc_co_u32_e32 v5, vcc, v5, v6, vcc
	global_load_dword v4, v[4:5], off
	v_add_u16_e32 v2, 1, v2
	v_mov_b32_e32 v3, 43
	v_mul_lo_u16_sdwa v3, sext(v2), v3 dst_sel:DWORD dst_unused:UNUSED_PAD src0_sel:BYTE_0 src1_sel:DWORD
	v_lshrrev_b16_e32 v5, 15, v3
	v_add_u16_sdwa v3, v3, v5 dst_sel:DWORD dst_unused:UNUSED_PAD src0_sel:BYTE_1 src1_sel:DWORD
	v_mul_lo_u16_e32 v3, 6, v3
	v_sub_u16_e32 v2, v2, v3
	v_bfe_i32 v2, v2, 0, 8
	v_ashrrev_i32_e32 v3, 31, v2
	v_lshlrev_b64 v[2:3], 2, v[2:3]
	v_add_co_u32_e32 v2, vcc, s4, v2
	v_addc_co_u32_e32 v3, vcc, v3, v6, vcc
	v_mov_b32_e32 v6, s14
	v_mov_b32_e32 v7, s15
	s_movk_i32 s6, 0xc0
	v_mov_b32_e32 v8, s12
	v_mov_b32_e32 v9, s13
	global_load_dword v2, v[2:3], off
	v_lshlrev_b64 v[0:1], 3, v[0:1]
	v_mul_lo_u32 v3, v17, s6
	v_mad_u64_u32 v[6:7], s[4:5], v16, s6, v[6:7]
	v_accvgpr_write_b32 a255, v16           ;  Reload Reuse
	v_mad_u64_u32 v[8:9], s[4:5], v16, s6, v[8:9]
	v_add_u32_e32 v7, v3, v7
	v_add_u32_e32 v3, v3, v9
	v_add_co_u32_e32 v0, vcc, v8, v0
	v_addc_co_u32_e32 v1, vcc, v3, v1, vcc
	v_accvgpr_write_b32 a254, v17           ;  Reload Reuse
	global_load_dwordx2 v[56:57], v[6:7], off
	global_load_dwordx4 v[52:55], v[6:7], off offset:56
	global_load_dwordx4 v[48:51], v[6:7], off offset:120
	global_load_dwordx2 v[10:11], v[6:7], off offset:184
	global_load_dwordx2 v[16:17], v[0:1], off
	global_load_dwordx2 v[18:19], v[0:1], off offset:64
	v_mov_b32_e32 v46, 0xe48e0530
	v_mov_b32_e32 v47, 0x2b2bff2e
	v_mov_b32_e32 v209, -1
	s_mov_b64 s[12:13], 0
	v_mov_b32_e32 v212, -1
	v_mov_b32_e32 v213, -1
	;; [unrolled: 1-line block ×3, first 2 shown]
                                        ; implicit-def: $sgpr40_sgpr41
	s_waitcnt vmcnt(9)
	v_ashrrev_i32_e32 v13, 31, v12
	v_lshlrev_b64 v[12:13], 3, v[12:13]
	s_waitcnt vmcnt(8)
	v_ashrrev_i32_e32 v15, 31, v14
	v_add_co_u32_e32 v12, vcc, v8, v12
	v_lshlrev_b64 v[14:15], 3, v[14:15]
	v_addc_co_u32_e32 v13, vcc, v3, v13, vcc
	v_add_co_u32_e32 v8, vcc, v8, v14
	v_addc_co_u32_e32 v9, vcc, v3, v15, vcc
	global_load_dwordx2 v[20:21], v[12:13], off
	global_load_dwordx2 v[22:23], v[0:1], off offset:128
	global_load_dwordx2 v[24:25], v[12:13], off offset:64
	;; [unrolled: 1-line block ×4, first 2 shown]
	global_load_dwordx2 v[30:31], v[8:9], off
	s_waitcnt vmcnt(13)
	v_ashrrev_i32_e32 v5, 31, v4
	v_lshlrev_b64 v[0:1], 3, v[4:5]
	v_add_co_u32_e32 v0, vcc, v6, v0
	v_addc_co_u32_e32 v1, vcc, v7, v1, vcc
	global_load_dwordx2 v[32:33], v[8:9], off offset:128
	global_load_dwordx2 v[34:35], v[0:1], off
	global_load_dwordx2 v[36:37], v[0:1], off offset:64
	global_load_dwordx2 v[38:39], v[0:1], off offset:128
	v_mov_b32_e32 v4, 5
	v_mov_b32_e32 v5, 8
	s_waitcnt vmcnt(16)
	v_ashrrev_i32_e32 v3, 31, v2
	v_lshlrev_b64 v[0:1], 3, v[2:3]
	v_add_co_u32_e32 v0, vcc, v6, v0
	v_addc_co_u32_e32 v1, vcc, v7, v1, vcc
	global_load_dwordx2 v[40:41], v[0:1], off
	global_load_dwordx2 v[42:43], v[0:1], off offset:64
	global_load_dwordx2 v[44:45], v[0:1], off offset:128
	v_mov_b32_e32 v0, 2
	v_mov_b32_e32 v6, 7
	;; [unrolled: 1-line block ×6, first 2 shown]
	s_waitcnt vmcnt(17)
	v_add_f64 v[60:61], v[52:53], -v[56:57]
	s_waitcnt vmcnt(16)
	v_add_f64 v[58:59], v[48:49], -v[54:55]
	s_waitcnt vmcnt(15)
	v_add_f64 v[48:49], v[10:11], -v[50:51]
	buffer_store_dword v0, off, s[0:3], 0 offset:44
	buffer_store_dword v1, off, s[0:3], 0 offset:40
	;; [unrolled: 1-line block ×8, first 2 shown]
	s_waitcnt vmcnt(21)
	v_add_f64 v[14:15], v[18:19], -v[54:55]
	v_add_f64 v[12:13], v[16:17], -v[56:57]
	s_waitcnt vmcnt(20)
	v_add_f64 v[4:5], v[20:21], -v[56:57]
	s_waitcnt vmcnt(19)
	;; [unrolled: 2-line block ×5, first 2 shown]
	v_add_f64 v[0:1], v[30:31], -v[56:57]
	v_add_f64 v[10:11], v[26:27], -v[50:51]
	s_waitcnt vmcnt(14)
	v_add_f64 v[2:3], v[32:33], -v[50:51]
	s_waitcnt vmcnt(13)
	;; [unrolled: 2-line block ×4, first 2 shown]
	v_add_f64 v[52:53], v[38:39], -v[50:51]
	v_mul_f64 v[24:25], v[52:53], v[60:61]
	v_mul_f64 v[22:23], v[62:63], v[48:49]
	v_fma_f64 v[24:25], v[64:65], v[48:49], -v[24:25]
	v_fma_f64 v[22:23], v[52:53], v[58:59], -v[22:23]
	v_mul_f64 v[28:29], v[14:15], v[24:25]
	v_mul_f64 v[30:31], v[8:9], v[24:25]
	;; [unrolled: 1-line block ×3, first 2 shown]
	buffer_store_dword v56, off, s[0:3], 0 offset:2232 ; 4-byte Folded Spill
	s_nop 0
	buffer_store_dword v57, off, s[0:3], 0 offset:2236 ; 4-byte Folded Spill
	v_mul_f64 v[20:21], v[62:63], v[60:61]
	v_fmac_f64_e32 v[28:29], v[12:13], v[22:23]
	v_fmac_f64_e32 v[30:31], v[4:5], v[22:23]
	;; [unrolled: 1-line block ×3, first 2 shown]
	v_pk_mov_b32 v[22:23], v[54:55], v[54:55] op_sel:[0,1]
	buffer_store_dword v20, off, s[0:3], 0 offset:2208 ; 4-byte Folded Spill
	s_nop 0
	buffer_store_dword v21, off, s[0:3], 0 offset:2212 ; 4-byte Folded Spill
	buffer_store_dword v22, off, s[0:3], 0 offset:2216 ; 4-byte Folded Spill
	;; [unrolled: 1-line block ×3, first 2 shown]
	v_mul_f64 v[18:19], v[64:65], v[58:59]
	v_pk_mov_b32 v[22:23], v[50:51], v[50:51] op_sel:[0,1]
	v_fma_f64 v[26:27], v[62:63], v[60:61], -v[18:19]
	v_fmac_f64_e32 v[28:29], v[16:17], v[26:27]
	s_waitcnt vmcnt(15)
	v_add_f64 v[54:55], v[42:43], -v[54:55]
	s_waitcnt vmcnt(14)
	v_add_f64 v[44:45], v[44:45], -v[50:51]
	v_mul_f64 v[24:25], v[64:65], v[54:55]
	v_mul_f64 v[18:19], v[44:45], v[18:19]
	v_mul_f64 v[36:37], v[44:45], v[58:59]
	v_mul_f64 v[34:35], v[54:55], v[60:61]
	v_fma_f64 v[18:19], v[24:25], v[48:49], -v[18:19]
	v_fma_f64 v[36:37], v[54:55], v[48:49], -v[36:37]
	v_fmac_f64_e32 v[30:31], v[10:11], v[26:27]
	v_fmac_f64_e32 v[32:33], v[2:3], v[26:27]
	buffer_store_dword v20, off, s[0:3], 0 offset:2192 ; 4-byte Folded Spill
	s_nop 0
	buffer_store_dword v21, off, s[0:3], 0 offset:2196 ; 4-byte Folded Spill
	buffer_store_dword v22, off, s[0:3], 0 offset:2200 ; 4-byte Folded Spill
	;; [unrolled: 1-line block ×3, first 2 shown]
	v_add_f64 v[56:57], v[40:41], -v[56:57]
	v_mul_f64 v[22:23], v[56:57], v[58:59]
	v_mul_f64 v[38:39], v[56:57], v[48:49]
	buffer_store_dword v60, off, s[0:3], 0 offset:2248 ; 4-byte Folded Spill
	s_nop 0
	buffer_store_dword v61, off, s[0:3], 0 offset:2252 ; 4-byte Folded Spill
	buffer_store_dword v58, off, s[0:3], 0 offset:2240 ; 4-byte Folded Spill
	s_nop 0
	buffer_store_dword v59, off, s[0:3], 0 offset:2244 ; 4-byte Folded Spill
	;; [unrolled: 3-line block ×3, first 2 shown]
	v_mul_f64 v[26:27], v[62:63], v[56:57]
	v_fmac_f64_e32 v[18:19], v[52:53], v[22:23]
	v_fma_f64 v[38:39], v[44:45], v[60:61], -v[38:39]
	v_fma_f64 v[40:41], v[56:57], v[58:59], -v[34:35]
	v_fma_f64 v[18:19], -v[26:27], v[48:49], v[18:19]
	v_fmac_f64_e32 v[18:19], v[44:45], v[20:21]
	v_fma_f64 v[48:49], -v[52:53], v[34:35], v[18:19]
	v_fmac_f64_e32 v[46:47], v[48:49], v[48:49]
	v_div_scale_f64 v[18:19], s[4:5], v[46:47], v[46:47], v[48:49]
	v_div_scale_f64 v[34:35], vcc, v[48:49], v[46:47], v[48:49]
	buffer_store_dword v48, off, s[0:3], 0 offset:2256 ; 4-byte Folded Spill
	s_nop 0
	buffer_store_dword v49, off, s[0:3], 0 offset:2260 ; 4-byte Folded Spill
	v_rcp_f64_e32 v[20:21], v[18:19]
	v_mul_f64 v[22:23], v[14:15], v[38:39]
	v_mul_f64 v[42:43], v[8:9], v[38:39]
	;; [unrolled: 1-line block ×3, first 2 shown]
	v_fmac_f64_e32 v[22:23], v[12:13], v[36:37]
	v_fmac_f64_e32 v[42:43], v[4:5], v[36:37]
	;; [unrolled: 1-line block ×3, first 2 shown]
	v_fma_f64 v[36:37], -v[18:19], v[20:21], 1.0
	v_fmac_f64_e32 v[20:21], v[20:21], v[36:37]
	v_fma_f64 v[36:37], -v[18:19], v[20:21], 1.0
	v_fmac_f64_e32 v[20:21], v[20:21], v[36:37]
	v_mul_f64 v[36:37], v[34:35], v[20:21]
	v_fma_f64 v[18:19], -v[18:19], v[36:37], v[34:35]
	v_div_fmas_f64 v[18:19], v[18:19], v[20:21], v[36:37]
	v_fmac_f64_e32 v[22:23], v[16:17], v[40:41]
	v_fmac_f64_e32 v[42:43], v[10:11], v[40:41]
	;; [unrolled: 1-line block ×3, first 2 shown]
	v_div_fixup_f64 v[18:19], v[18:19], v[46:47], v[48:49]
	v_mul_f64 v[20:21], v[22:23], v[18:19]
	buffer_store_dword v20, off, s[0:3], 0 offset:2144 ; 4-byte Folded Spill
	s_nop 0
	buffer_store_dword v21, off, s[0:3], 0 offset:2148 ; 4-byte Folded Spill
	v_fma_f64 v[20:21], -v[22:23], v[18:19], 1.0
	v_fma_f64 v[206:207], -v[28:29], v[18:19], v[20:21]
	v_mul_f64 v[20:21], v[28:29], v[18:19]
	buffer_store_dword v20, off, s[0:3], 0 offset:2152 ; 4-byte Folded Spill
	s_nop 0
	buffer_store_dword v21, off, s[0:3], 0 offset:2156 ; 4-byte Folded Spill
	v_mul_f64 v[20:21], v[42:43], v[18:19]
	v_mul_f64 v[22:23], v[30:31], v[18:19]
	buffer_store_dword v20, off, s[0:3], 0 offset:2160 ; 4-byte Folded Spill
	s_nop 0
	buffer_store_dword v21, off, s[0:3], 0 offset:2164 ; 4-byte Folded Spill
	buffer_store_dword v22, off, s[0:3], 0 offset:2168 ; 4-byte Folded Spill
	s_nop 0
	buffer_store_dword v23, off, s[0:3], 0 offset:2172 ; 4-byte Folded Spill
	v_mul_f64 v[22:23], v[38:39], v[18:19]
	buffer_store_dword v22, off, s[0:3], 0 offset:2176 ; 4-byte Folded Spill
	s_nop 0
	buffer_store_dword v23, off, s[0:3], 0 offset:2180 ; 4-byte Folded Spill
	v_fma_f64 v[20:21], -v[42:43], v[18:19], 1.0
	v_fma_f64 v[22:23], -v[38:39], v[18:19], 1.0
	v_mul_f64 v[28:29], v[32:33], v[18:19]
	v_fma_f64 v[20:21], -v[30:31], v[18:19], v[20:21]
	v_fma_f64 v[22:23], -v[32:33], v[18:19], v[22:23]
	buffer_store_dword v28, off, s[0:3], 0 offset:2184 ; 4-byte Folded Spill
	s_nop 0
	buffer_store_dword v29, off, s[0:3], 0 offset:2188 ; 4-byte Folded Spill
	buffer_store_dword v207, off, s[0:3], 0 offset:4
	buffer_store_dword v206, off, s[0:3], 0
	buffer_store_dword v21, off, s[0:3], 0 offset:12
	buffer_store_dword v20, off, s[0:3], 0 offset:8
	;; [unrolled: 1-line block ×4, first 2 shown]
	v_mov_b32_e32 v30, 0
	v_mov_b32_e32 v31, 0
	v_add_u32_e32 v208, 40, v30
	v_pk_mov_b32 v[28:29], v[206:207], v[206:207] op_sel:[0,1]
	buffer_store_dword v209, off, s[0:3], 0 offset:48
	buffer_store_dword v209, off, s[0:3], 0 offset:72
.LBB4_7:                                ; =>This Inner Loop Header: Depth=1
	v_lshl_add_u32 v32, v31, 2, v208
	buffer_load_dword v34, v32, s[0:3], 0 offen
	v_cmp_le_f64_e32 vcc, 0, v[28:29]
	v_cmp_gt_f64_e64 s[4:5], 0, v[28:29]
	s_waitcnt vmcnt(0)
	v_max_i32_e32 v35, 0, v34
	v_lshl_add_u32 v36, v35, 3, v30
	buffer_load_dword v32, v36, s[0:3], 0 offen
	buffer_load_dword v33, v36, s[0:3], 0 offen offset:4
	v_cmp_gt_i32_e64 s[6:7], 0, v34
	s_waitcnt vmcnt(0)
	v_cmp_gt_f64_e64 s[8:9], 0, v[32:33]
	v_cmp_le_f64_e64 s[10:11], 0, v[32:33]
	s_and_b64 vcc, vcc, s[8:9]
	s_and_b64 s[8:9], s[4:5], s[10:11]
	s_or_b64 s[12:13], s[6:7], s[12:13]
	s_andn2_b64 s[6:7], s[40:41], exec
	s_and_b64 s[4:5], s[4:5], exec
	v_pk_mov_b32 v[28:29], v[32:33], v[32:33] op_sel:[0,1]
	v_cndmask_b32_e32 v213, v213, v35, vcc
	v_cndmask_b32_e64 v210, v210, v35, s[8:9]
	v_cndmask_b32_e32 v209, v209, v31, vcc
	v_cndmask_b32_e64 v212, v212, v31, s[8:9]
	v_mov_b32_e32 v31, v34
	s_or_b64 s[40:41], s[6:7], s[4:5]
	s_andn2_b64 exec, exec, s[12:13]
	s_cbranch_execnz .LBB4_7
; %bb.8:
	s_or_b64 exec, exec, s[12:13]
	buffer_store_dword v54, off, s[0:3], 0 offset:2280 ; 4-byte Folded Spill
	s_nop 0
	buffer_store_dword v55, off, s[0:3], 0 offset:2284 ; 4-byte Folded Spill
	buffer_store_dword v62, off, s[0:3], 0 offset:2288 ; 4-byte Folded Spill
	s_nop 0
	buffer_store_dword v63, off, s[0:3], 0 offset:2292 ; 4-byte Folded Spill
	v_add_f64 v[24:25], v[24:25], -v[26:27]
	v_cmp_lt_i32_e64 s[4:5], -1, v209
	v_mov_b32_e32 v211, -1
	v_mov_b32_e32 v214, -1
	;; [unrolled: 1-line block ×3, first 2 shown]
	v_mul_f64 v[28:29], v[52:53], v[54:55]
	v_fma_f64 v[28:29], v[62:63], v[44:45], -v[28:29]
	buffer_store_dword v44, off, s[0:3], 0 offset:2264 ; 4-byte Folded Spill
	s_nop 0
	buffer_store_dword v45, off, s[0:3], 0 offset:2268 ; 4-byte Folded Spill
	buffer_store_dword v64, off, s[0:3], 0 offset:2304 ; 4-byte Folded Spill
	s_nop 0
	buffer_store_dword v65, off, s[0:3], 0 offset:2308 ; 4-byte Folded Spill
	;; [unrolled: 3-line block ×4, first 2 shown]
	v_mul_f64 v[30:31], v[64:65], v[44:45]
	v_fma_f64 v[30:31], v[52:53], v[56:57], -v[30:31]
	v_mul_f64 v[8:9], v[8:9], v[30:31]
	v_mul_f64 v[14:15], v[14:15], v[30:31]
	v_fmac_f64_e32 v[8:9], v[4:5], v[28:29]
	v_mul_f64 v[4:5], v[6:7], v[30:31]
	v_fmac_f64_e32 v[14:15], v[12:13], v[28:29]
	v_fmac_f64_e32 v[4:5], v[0:1], v[28:29]
	v_fmac_f64_e32 v[14:15], v[16:17], v[24:25]
	v_fmac_f64_e32 v[8:9], v[10:11], v[24:25]
	v_fmac_f64_e32 v[4:5], v[2:3], v[24:25]
	v_mul_f64 v[252:253], v[14:15], v[18:19]
	v_mul_f64 v[248:249], v[8:9], v[18:19]
	;; [unrolled: 1-line block ×3, first 2 shown]
	v_fma_f64 v[32:33], -v[14:15], v[18:19], v[206:207]
	v_fma_f64 v[250:251], -v[8:9], v[18:19], v[20:21]
	v_fma_f64 v[204:205], -v[4:5], v[18:19], v[22:23]
	s_mov_b64 s[42:43], exec
                                        ; implicit-def: $vgpr34_vgpr35_vgpr36_vgpr37_vgpr38_vgpr39_vgpr40_vgpr41_vgpr42_vgpr43_vgpr44_vgpr45_vgpr46_vgpr47_vgpr48_vgpr49_vgpr50_vgpr51_vgpr52_vgpr53_vgpr54_vgpr55_vgpr56_vgpr57_vgpr58_vgpr59_vgpr60_vgpr61_vgpr62_vgpr63_vgpr64_vgpr65
                                        ; kill: killed $vgpr34_vgpr35_vgpr36_vgpr37_vgpr38_vgpr39_vgpr40_vgpr41_vgpr42_vgpr43_vgpr44_vgpr45_vgpr46_vgpr47_vgpr48_vgpr49_vgpr50_vgpr51_vgpr52_vgpr53_vgpr54_vgpr55_vgpr56_vgpr57_vgpr58_vgpr59_vgpr60_vgpr61_vgpr62_vgpr63_vgpr64_vgpr65
                                        ; implicit-def: $vgpr92_vgpr93_vgpr94_vgpr95_vgpr96_vgpr97_vgpr98_vgpr99_vgpr100_vgpr101_vgpr102_vgpr103_vgpr104_vgpr105_vgpr106_vgpr107_vgpr108_vgpr109_vgpr110_vgpr111_vgpr112_vgpr113_vgpr114_vgpr115_vgpr116_vgpr117_vgpr118_vgpr119_vgpr120_vgpr121_vgpr122_vgpr123
                                        ; implicit-def: $agpr44_agpr45_agpr46_agpr47_agpr48_agpr49_agpr50_agpr51_agpr52_agpr53_agpr54_agpr55_agpr56_agpr57_agpr58_agpr59_agpr60_agpr61_agpr62_agpr63_agpr64_agpr65_agpr66_agpr67_agpr68_agpr69_agpr70_agpr71_agpr72_agpr73_agpr74_agpr75
                                        ; implicit-def: $agpr172_agpr173_agpr174_agpr175_agpr176_agpr177_agpr178_agpr179_agpr180_agpr181_agpr182_agpr183_agpr184_agpr185_agpr186_agpr187_agpr188_agpr189_agpr190_agpr191_agpr192_agpr193_agpr194_agpr195_agpr196_agpr197_agpr198_agpr199_agpr200_agpr201_agpr202_agpr203
                                        ; implicit-def: $agpr126_agpr127_agpr128_agpr129_agpr130_agpr131_agpr132_agpr133_agpr134_agpr135_agpr136_agpr137_agpr138_agpr139_agpr140_agpr141_agpr142_agpr143_agpr144_agpr145_agpr146_agpr147_agpr148_agpr149_agpr150_agpr151_agpr152_agpr153_agpr154_agpr155_agpr156_agpr157
	s_and_b64 s[6:7], s[42:43], s[4:5]
                                        ; implicit-def: $vgpr34_vgpr35_vgpr36_vgpr37_vgpr38_vgpr39_vgpr40_vgpr41_vgpr42_vgpr43_vgpr44_vgpr45_vgpr46_vgpr47_vgpr48_vgpr49_vgpr50_vgpr51_vgpr52_vgpr53_vgpr54_vgpr55_vgpr56_vgpr57_vgpr58_vgpr59_vgpr60_vgpr61_vgpr62_vgpr63_vgpr64_vgpr65
                                        ; kill: killed $vgpr34_vgpr35_vgpr36_vgpr37_vgpr38_vgpr39_vgpr40_vgpr41_vgpr42_vgpr43_vgpr44_vgpr45_vgpr46_vgpr47_vgpr48_vgpr49_vgpr50_vgpr51_vgpr52_vgpr53_vgpr54_vgpr55_vgpr56_vgpr57_vgpr58_vgpr59_vgpr60_vgpr61_vgpr62_vgpr63_vgpr64_vgpr65
                                        ; implicit-def: $vgpr66_vgpr67_vgpr68_vgpr69_vgpr70_vgpr71_vgpr72_vgpr73_vgpr74_vgpr75_vgpr76_vgpr77_vgpr78_vgpr79_vgpr80_vgpr81_vgpr82_vgpr83_vgpr84_vgpr85_vgpr86_vgpr87_vgpr88_vgpr89_vgpr90_vgpr91_vgpr92_vgpr93_vgpr94_vgpr95_vgpr96_vgpr97
                                        ; implicit-def: $agpr62_agpr63_agpr64_agpr65_agpr66_agpr67_agpr68_agpr69_agpr70_agpr71_agpr72_agpr73_agpr74_agpr75_agpr76_agpr77_agpr78_agpr79_agpr80_agpr81_agpr82_agpr83_agpr84_agpr85_agpr86_agpr87_agpr88_agpr89_agpr90_agpr91_agpr92_agpr93
                                        ; implicit-def: $agpr28_agpr29_agpr30_agpr31_agpr32_agpr33_agpr34_agpr35_agpr36_agpr37_agpr38_agpr39_agpr40_agpr41_agpr42_agpr43_agpr44_agpr45_agpr46_agpr47_agpr48_agpr49_agpr50_agpr51_agpr52_agpr53_agpr54_agpr55_agpr56_agpr57_agpr58_agpr59
                                        ; implicit-def: $vgpr156_vgpr157_vgpr158_vgpr159_vgpr160_vgpr161_vgpr162_vgpr163_vgpr164_vgpr165_vgpr166_vgpr167_vgpr168_vgpr169_vgpr170_vgpr171_vgpr172_vgpr173_vgpr174_vgpr175_vgpr176_vgpr177_vgpr178_vgpr179_vgpr180_vgpr181_vgpr182_vgpr183_vgpr184_vgpr185_vgpr186_vgpr187
                                        ; implicit-def: $vgpr124_vgpr125_vgpr126_vgpr127_vgpr128_vgpr129_vgpr130_vgpr131_vgpr132_vgpr133_vgpr134_vgpr135_vgpr136_vgpr137_vgpr138_vgpr139_vgpr140_vgpr141_vgpr142_vgpr143_vgpr144_vgpr145_vgpr146_vgpr147_vgpr148_vgpr149_vgpr150_vgpr151_vgpr152_vgpr153_vgpr154_vgpr155
                                        ; implicit-def: $agpr140_agpr141_agpr142_agpr143_agpr144_agpr145_agpr146_agpr147_agpr148_agpr149_agpr150_agpr151_agpr152_agpr153_agpr154_agpr155_agpr156_agpr157_agpr158_agpr159_agpr160_agpr161_agpr162_agpr163_agpr164_agpr165_agpr166_agpr167_agpr168_agpr169_agpr170_agpr171
                                        ; implicit-def: $agpr218_agpr219_agpr220_agpr221_agpr222_agpr223_agpr224_agpr225_agpr226_agpr227_agpr228_agpr229_agpr230_agpr231_agpr232_agpr233_agpr234_agpr235_agpr236_agpr237_agpr238_agpr239_agpr240_agpr241_agpr242_agpr243_agpr244_agpr245_agpr246_agpr247_agpr248_agpr249
                                        ; implicit-def: $agpr186_agpr187_agpr188_agpr189_agpr190_agpr191_agpr192_agpr193_agpr194_agpr195_agpr196_agpr197_agpr198_agpr199_agpr200_agpr201_agpr202_agpr203_agpr204_agpr205_agpr206_agpr207_agpr208_agpr209_agpr210_agpr211_agpr212_agpr213_agpr214_agpr215_agpr216_agpr217
                                        ; implicit-def: $vgpr0_vgpr1_vgpr2_vgpr3_vgpr4_vgpr5_vgpr6_vgpr7_vgpr8_vgpr9_vgpr10_vgpr11_vgpr12_vgpr13_vgpr14_vgpr15_vgpr16_vgpr17_vgpr18_vgpr19_vgpr20_vgpr21_vgpr22_vgpr23_vgpr24_vgpr25_vgpr26_vgpr27_vgpr28_vgpr29_vgpr30_vgpr31
                                        ; implicit-def: $vgpr172_vgpr173_vgpr174_vgpr175_vgpr176_vgpr177_vgpr178_vgpr179_vgpr180_vgpr181_vgpr182_vgpr183_vgpr184_vgpr185_vgpr186_vgpr187_vgpr188_vgpr189_vgpr190_vgpr191_vgpr192_vgpr193_vgpr194_vgpr195_vgpr196_vgpr197_vgpr198_vgpr199_vgpr200_vgpr201_vgpr202_vgpr203
                                        ; implicit-def: $vgpr34_vgpr35_vgpr36_vgpr37_vgpr38_vgpr39_vgpr40_vgpr41_vgpr42_vgpr43_vgpr44_vgpr45_vgpr46_vgpr47_vgpr48_vgpr49_vgpr50_vgpr51_vgpr52_vgpr53_vgpr54_vgpr55_vgpr56_vgpr57_vgpr58_vgpr59_vgpr60_vgpr61_vgpr62_vgpr63_vgpr64_vgpr65
                                        ; kill: killed $vgpr34_vgpr35_vgpr36_vgpr37_vgpr38_vgpr39_vgpr40_vgpr41_vgpr42_vgpr43_vgpr44_vgpr45_vgpr46_vgpr47_vgpr48_vgpr49_vgpr50_vgpr51_vgpr52_vgpr53_vgpr54_vgpr55_vgpr56_vgpr57_vgpr58_vgpr59_vgpr60_vgpr61_vgpr62_vgpr63_vgpr64_vgpr65
                                        ; implicit-def: $agpr78_agpr79_agpr80_agpr81_agpr82_agpr83_agpr84_agpr85_agpr86_agpr87_agpr88_agpr89_agpr90_agpr91_agpr92_agpr93_agpr94_agpr95_agpr96_agpr97_agpr98_agpr99_agpr100_agpr101_agpr102_agpr103_agpr104_agpr105_agpr106_agpr107_agpr108_agpr109
                                        ; implicit-def: $agpr0_agpr1_agpr2_agpr3_agpr4_agpr5_agpr6_agpr7_agpr8_agpr9_agpr10_agpr11_agpr12_agpr13_agpr14_agpr15_agpr16_agpr17_agpr18_agpr19_agpr20_agpr21_agpr22_agpr23_agpr24_agpr25_agpr26_agpr27_agpr28_agpr29_agpr30_agpr31
                                        ; implicit-def: $vgpr216_vgpr217_vgpr218_vgpr219_vgpr220_vgpr221_vgpr222_vgpr223_vgpr224_vgpr225_vgpr226_vgpr227_vgpr228_vgpr229_vgpr230_vgpr231_vgpr232_vgpr233_vgpr234_vgpr235_vgpr236_vgpr237_vgpr238_vgpr239_vgpr240_vgpr241_vgpr242_vgpr243_vgpr244_vgpr245_vgpr246_vgpr247
                                        ; implicit-def: $vgpr134_vgpr135_vgpr136_vgpr137_vgpr138_vgpr139_vgpr140_vgpr141_vgpr142_vgpr143_vgpr144_vgpr145_vgpr146_vgpr147_vgpr148_vgpr149_vgpr150_vgpr151_vgpr152_vgpr153_vgpr154_vgpr155_vgpr156_vgpr157_vgpr158_vgpr159_vgpr160_vgpr161_vgpr162_vgpr163_vgpr164_vgpr165
                                        ; implicit-def: $vgpr100_vgpr101_vgpr102_vgpr103_vgpr104_vgpr105_vgpr106_vgpr107_vgpr108_vgpr109_vgpr110_vgpr111_vgpr112_vgpr113_vgpr114_vgpr115_vgpr116_vgpr117_vgpr118_vgpr119_vgpr120_vgpr121_vgpr122_vgpr123_vgpr124_vgpr125_vgpr126_vgpr127_vgpr128_vgpr129_vgpr130_vgpr131
                                        ; implicit-def: $agpr200_agpr201_agpr202_agpr203_agpr204_agpr205_agpr206_agpr207_agpr208_agpr209_agpr210_agpr211_agpr212_agpr213_agpr214_agpr215_agpr216_agpr217_agpr218_agpr219_agpr220_agpr221_agpr222_agpr223_agpr224_agpr225_agpr226_agpr227_agpr228_agpr229_agpr230_agpr231
                                        ; implicit-def: $agpr152_agpr153_agpr154_agpr155_agpr156_agpr157_agpr158_agpr159_agpr160_agpr161_agpr162_agpr163_agpr164_agpr165_agpr166_agpr167_agpr168_agpr169_agpr170_agpr171_agpr172_agpr173_agpr174_agpr175_agpr176_agpr177_agpr178_agpr179_agpr180_agpr181_agpr182_agpr183
                                        ; implicit-def: $vgpr34_vgpr35_vgpr36_vgpr37_vgpr38_vgpr39_vgpr40_vgpr41_vgpr42_vgpr43_vgpr44_vgpr45_vgpr46_vgpr47_vgpr48_vgpr49_vgpr50_vgpr51_vgpr52_vgpr53_vgpr54_vgpr55_vgpr56_vgpr57_vgpr58_vgpr59_vgpr60_vgpr61_vgpr62_vgpr63_vgpr64_vgpr65
                                        ; kill: killed $vgpr34_vgpr35_vgpr36_vgpr37_vgpr38_vgpr39_vgpr40_vgpr41_vgpr42_vgpr43_vgpr44_vgpr45_vgpr46_vgpr47_vgpr48_vgpr49_vgpr50_vgpr51_vgpr52_vgpr53_vgpr54_vgpr55_vgpr56_vgpr57_vgpr58_vgpr59_vgpr60_vgpr61_vgpr62_vgpr63_vgpr64_vgpr65
                                        ; implicit-def: $agpr90_agpr91_agpr92_agpr93_agpr94_agpr95_agpr96_agpr97_agpr98_agpr99_agpr100_agpr101_agpr102_agpr103_agpr104_agpr105_agpr106_agpr107_agpr108_agpr109_agpr110_agpr111_agpr112_agpr113_agpr114_agpr115_agpr116_agpr117_agpr118_agpr119_agpr120_agpr121
                                        ; implicit-def: $agpr12_agpr13_agpr14_agpr15_agpr16_agpr17_agpr18_agpr19_agpr20_agpr21_agpr22_agpr23_agpr24_agpr25_agpr26_agpr27_agpr28_agpr29_agpr30_agpr31_agpr32_agpr33_agpr34_agpr35_agpr36_agpr37_agpr38_agpr39_agpr40_agpr41_agpr42_agpr43
                                        ; kill: killed $agpr12_agpr13_agpr14_agpr15_agpr16_agpr17_agpr18_agpr19_agpr20_agpr21_agpr22_agpr23_agpr24_agpr25_agpr26_agpr27_agpr28_agpr29_agpr30_agpr31_agpr32_agpr33_agpr34_agpr35_agpr36_agpr37_agpr38_agpr39_agpr40_agpr41_agpr42_agpr43
                                        ; implicit-def: $vgpr34_vgpr35_vgpr36_vgpr37_vgpr38_vgpr39_vgpr40_vgpr41_vgpr42_vgpr43_vgpr44_vgpr45_vgpr46_vgpr47_vgpr48_vgpr49_vgpr50_vgpr51_vgpr52_vgpr53_vgpr54_vgpr55_vgpr56_vgpr57_vgpr58_vgpr59_vgpr60_vgpr61_vgpr62_vgpr63_vgpr64_vgpr65
                                        ; implicit-def: $agpr106_agpr107_agpr108_agpr109_agpr110_agpr111_agpr112_agpr113_agpr114_agpr115_agpr116_agpr117_agpr118_agpr119_agpr120_agpr121_agpr122_agpr123_agpr124_agpr125_agpr126_agpr127_agpr128_agpr129_agpr130_agpr131_agpr132_agpr133_agpr134_agpr135_agpr136_agpr137
                                        ; implicit-def: $agpr12_agpr13_agpr14_agpr15_agpr16_agpr17_agpr18_agpr19_agpr20_agpr21_agpr22_agpr23_agpr24_agpr25_agpr26_agpr27_agpr28_agpr29_agpr30_agpr31_agpr32_agpr33_agpr34_agpr35_agpr36_agpr37_agpr38_agpr39_agpr40_agpr41_agpr42_agpr43
                                        ; kill: killed $agpr12_agpr13_agpr14_agpr15_agpr16_agpr17_agpr18_agpr19_agpr20_agpr21_agpr22_agpr23_agpr24_agpr25_agpr26_agpr27_agpr28_agpr29_agpr30_agpr31_agpr32_agpr33_agpr34_agpr35_agpr36_agpr37_agpr38_agpr39_agpr40_agpr41_agpr42_agpr43
                                        ; implicit-def: $vgpr42_vgpr43_vgpr44_vgpr45_vgpr46_vgpr47_vgpr48_vgpr49_vgpr50_vgpr51_vgpr52_vgpr53_vgpr54_vgpr55_vgpr56_vgpr57_vgpr58_vgpr59_vgpr60_vgpr61_vgpr62_vgpr63_vgpr64_vgpr65_vgpr66_vgpr67_vgpr68_vgpr69_vgpr70_vgpr71_vgpr72_vgpr73
                                        ; kill: killed $vgpr42_vgpr43_vgpr44_vgpr45_vgpr46_vgpr47_vgpr48_vgpr49_vgpr50_vgpr51_vgpr52_vgpr53_vgpr54_vgpr55_vgpr56_vgpr57_vgpr58_vgpr59_vgpr60_vgpr61_vgpr62_vgpr63_vgpr64_vgpr65_vgpr66_vgpr67_vgpr68_vgpr69_vgpr70_vgpr71_vgpr72_vgpr73
                                        ; implicit-def: $vgpr42_vgpr43_vgpr44_vgpr45_vgpr46_vgpr47_vgpr48_vgpr49_vgpr50_vgpr51_vgpr52_vgpr53_vgpr54_vgpr55_vgpr56_vgpr57_vgpr58_vgpr59_vgpr60_vgpr61_vgpr62_vgpr63_vgpr64_vgpr65_vgpr66_vgpr67_vgpr68_vgpr69_vgpr70_vgpr71_vgpr72_vgpr73
                                        ; kill: killed $vgpr42_vgpr43_vgpr44_vgpr45_vgpr46_vgpr47_vgpr48_vgpr49_vgpr50_vgpr51_vgpr52_vgpr53_vgpr54_vgpr55_vgpr56_vgpr57_vgpr58_vgpr59_vgpr60_vgpr61_vgpr62_vgpr63_vgpr64_vgpr65_vgpr66_vgpr67_vgpr68_vgpr69_vgpr70_vgpr71_vgpr72_vgpr73
                                        ; implicit-def: $vgpr42_vgpr43_vgpr44_vgpr45_vgpr46_vgpr47_vgpr48_vgpr49_vgpr50_vgpr51_vgpr52_vgpr53_vgpr54_vgpr55_vgpr56_vgpr57_vgpr58_vgpr59_vgpr60_vgpr61_vgpr62_vgpr63_vgpr64_vgpr65_vgpr66_vgpr67_vgpr68_vgpr69_vgpr70_vgpr71_vgpr72_vgpr73
                                        ; kill: killed $vgpr42_vgpr43_vgpr44_vgpr45_vgpr46_vgpr47_vgpr48_vgpr49_vgpr50_vgpr51_vgpr52_vgpr53_vgpr54_vgpr55_vgpr56_vgpr57_vgpr58_vgpr59_vgpr60_vgpr61_vgpr62_vgpr63_vgpr64_vgpr65_vgpr66_vgpr67_vgpr68_vgpr69_vgpr70_vgpr71_vgpr72_vgpr73
                                        ; implicit-def: $vgpr42_vgpr43_vgpr44_vgpr45_vgpr46_vgpr47_vgpr48_vgpr49_vgpr50_vgpr51_vgpr52_vgpr53_vgpr54_vgpr55_vgpr56_vgpr57_vgpr58_vgpr59_vgpr60_vgpr61_vgpr62_vgpr63_vgpr64_vgpr65_vgpr66_vgpr67_vgpr68_vgpr69_vgpr70_vgpr71_vgpr72_vgpr73
                                        ; kill: killed $vgpr42_vgpr43_vgpr44_vgpr45_vgpr46_vgpr47_vgpr48_vgpr49_vgpr50_vgpr51_vgpr52_vgpr53_vgpr54_vgpr55_vgpr56_vgpr57_vgpr58_vgpr59_vgpr60_vgpr61_vgpr62_vgpr63_vgpr64_vgpr65_vgpr66_vgpr67_vgpr68_vgpr69_vgpr70_vgpr71_vgpr72_vgpr73
                                        ; implicit-def: $vgpr42_vgpr43_vgpr44_vgpr45_vgpr46_vgpr47_vgpr48_vgpr49_vgpr50_vgpr51_vgpr52_vgpr53_vgpr54_vgpr55_vgpr56_vgpr57_vgpr58_vgpr59_vgpr60_vgpr61_vgpr62_vgpr63_vgpr64_vgpr65_vgpr66_vgpr67_vgpr68_vgpr69_vgpr70_vgpr71_vgpr72_vgpr73
                                        ; kill: killed $vgpr42_vgpr43_vgpr44_vgpr45_vgpr46_vgpr47_vgpr48_vgpr49_vgpr50_vgpr51_vgpr52_vgpr53_vgpr54_vgpr55_vgpr56_vgpr57_vgpr58_vgpr59_vgpr60_vgpr61_vgpr62_vgpr63_vgpr64_vgpr65_vgpr66_vgpr67_vgpr68_vgpr69_vgpr70_vgpr71_vgpr72_vgpr73
                                        ; implicit-def: $vgpr42_vgpr43_vgpr44_vgpr45_vgpr46_vgpr47_vgpr48_vgpr49_vgpr50_vgpr51_vgpr52_vgpr53_vgpr54_vgpr55_vgpr56_vgpr57_vgpr58_vgpr59_vgpr60_vgpr61_vgpr62_vgpr63_vgpr64_vgpr65_vgpr66_vgpr67_vgpr68_vgpr69_vgpr70_vgpr71_vgpr72_vgpr73
                                        ; kill: killed $vgpr42_vgpr43_vgpr44_vgpr45_vgpr46_vgpr47_vgpr48_vgpr49_vgpr50_vgpr51_vgpr52_vgpr53_vgpr54_vgpr55_vgpr56_vgpr57_vgpr58_vgpr59_vgpr60_vgpr61_vgpr62_vgpr63_vgpr64_vgpr65_vgpr66_vgpr67_vgpr68_vgpr69_vgpr70_vgpr71_vgpr72_vgpr73
                                        ; implicit-def: $vgpr42_vgpr43_vgpr44_vgpr45_vgpr46_vgpr47_vgpr48_vgpr49_vgpr50_vgpr51_vgpr52_vgpr53_vgpr54_vgpr55_vgpr56_vgpr57_vgpr58_vgpr59_vgpr60_vgpr61_vgpr62_vgpr63_vgpr64_vgpr65_vgpr66_vgpr67_vgpr68_vgpr69_vgpr70_vgpr71_vgpr72_vgpr73
                                        ; kill: killed $vgpr42_vgpr43_vgpr44_vgpr45_vgpr46_vgpr47_vgpr48_vgpr49_vgpr50_vgpr51_vgpr52_vgpr53_vgpr54_vgpr55_vgpr56_vgpr57_vgpr58_vgpr59_vgpr60_vgpr61_vgpr62_vgpr63_vgpr64_vgpr65_vgpr66_vgpr67_vgpr68_vgpr69_vgpr70_vgpr71_vgpr72_vgpr73
                                        ; implicit-def: $vgpr42_vgpr43_vgpr44_vgpr45_vgpr46_vgpr47_vgpr48_vgpr49_vgpr50_vgpr51_vgpr52_vgpr53_vgpr54_vgpr55_vgpr56_vgpr57_vgpr58_vgpr59_vgpr60_vgpr61_vgpr62_vgpr63_vgpr64_vgpr65_vgpr66_vgpr67_vgpr68_vgpr69_vgpr70_vgpr71_vgpr72_vgpr73
                                        ; kill: killed $vgpr42_vgpr43_vgpr44_vgpr45_vgpr46_vgpr47_vgpr48_vgpr49_vgpr50_vgpr51_vgpr52_vgpr53_vgpr54_vgpr55_vgpr56_vgpr57_vgpr58_vgpr59_vgpr60_vgpr61_vgpr62_vgpr63_vgpr64_vgpr65_vgpr66_vgpr67_vgpr68_vgpr69_vgpr70_vgpr71_vgpr72_vgpr73
                                        ; implicit-def: $vgpr42_vgpr43_vgpr44_vgpr45_vgpr46_vgpr47_vgpr48_vgpr49_vgpr50_vgpr51_vgpr52_vgpr53_vgpr54_vgpr55_vgpr56_vgpr57_vgpr58_vgpr59_vgpr60_vgpr61_vgpr62_vgpr63_vgpr64_vgpr65_vgpr66_vgpr67_vgpr68_vgpr69_vgpr70_vgpr71_vgpr72_vgpr73
                                        ; kill: killed $vgpr42_vgpr43_vgpr44_vgpr45_vgpr46_vgpr47_vgpr48_vgpr49_vgpr50_vgpr51_vgpr52_vgpr53_vgpr54_vgpr55_vgpr56_vgpr57_vgpr58_vgpr59_vgpr60_vgpr61_vgpr62_vgpr63_vgpr64_vgpr65_vgpr66_vgpr67_vgpr68_vgpr69_vgpr70_vgpr71_vgpr72_vgpr73
                                        ; implicit-def: $vgpr42_vgpr43_vgpr44_vgpr45_vgpr46_vgpr47_vgpr48_vgpr49_vgpr50_vgpr51_vgpr52_vgpr53_vgpr54_vgpr55_vgpr56_vgpr57_vgpr58_vgpr59_vgpr60_vgpr61_vgpr62_vgpr63_vgpr64_vgpr65_vgpr66_vgpr67_vgpr68_vgpr69_vgpr70_vgpr71_vgpr72_vgpr73
                                        ; kill: killed $vgpr42_vgpr43_vgpr44_vgpr45_vgpr46_vgpr47_vgpr48_vgpr49_vgpr50_vgpr51_vgpr52_vgpr53_vgpr54_vgpr55_vgpr56_vgpr57_vgpr58_vgpr59_vgpr60_vgpr61_vgpr62_vgpr63_vgpr64_vgpr65_vgpr66_vgpr67_vgpr68_vgpr69_vgpr70_vgpr71_vgpr72_vgpr73
	s_mov_b64 exec, s[6:7]
	s_cbranch_execz .LBB4_10
; %bb.9:
	v_mov_b32_e32 v4, 0
	v_lshl_add_u32 v5, v213, 3, v4
	v_lshl_add_u32 v6, v209, 3, v4
	buffer_load_dword v0, v5, s[0:3], 0 offen
	buffer_load_dword v1, v5, s[0:3], 0 offen offset:4
	buffer_load_dword v2, v6, s[0:3], 0 offen
	buffer_load_dword v3, v6, s[0:3], 0 offen offset:4
	buffer_load_dword v26, off, s[0:3], 0 offset:2160 ; 4-byte Folded Reload
	buffer_load_dword v27, off, s[0:3], 0 offset:2164 ; 4-byte Folded Reload
	buffer_load_dword v28, off, s[0:3], 0 offset:2144 ; 4-byte Folded Reload
	buffer_load_dword v29, off, s[0:3], 0 offset:2148 ; 4-byte Folded Reload
	buffer_load_dword v24, off, s[0:3], 0 offset:2176 ; 4-byte Folded Reload
	buffer_load_dword v25, off, s[0:3], 0 offset:2180 ; 4-byte Folded Reload
	buffer_load_dword v34, off, s[0:3], 0 offset:2168 ; 4-byte Folded Reload
	buffer_load_dword v35, off, s[0:3], 0 offset:2172 ; 4-byte Folded Reload
	buffer_load_dword v36, off, s[0:3], 0 offset:2152 ; 4-byte Folded Reload
	buffer_load_dword v37, off, s[0:3], 0 offset:2156 ; 4-byte Folded Reload
	buffer_load_dword v30, off, s[0:3], 0 offset:2184 ; 4-byte Folded Reload
	buffer_load_dword v31, off, s[0:3], 0 offset:2188 ; 4-byte Folded Reload
	v_cmp_eq_u32_e64 s[6:7], 1, v209
	v_cmp_eq_u32_e64 s[8:9], 1, v213
	;; [unrolled: 1-line block ×4, first 2 shown]
	v_lshl_add_u32 v12, v212, 3, v4
	v_cmp_eq_u32_e64 s[16:17], 3, v209
	v_cmp_eq_u32_e64 s[14:15], 3, v213
	v_lshl_add_u32 v13, v210, 3, v4
	v_cmp_eq_u32_e64 s[22:23], 4, v209
	v_cmp_eq_u32_e64 s[18:19], 4, v213
	;; [unrolled: 1-line block ×10, first 2 shown]
                                        ; implicit-def: $vgpr42_vgpr43_vgpr44_vgpr45_vgpr46_vgpr47_vgpr48_vgpr49_vgpr50_vgpr51_vgpr52_vgpr53_vgpr54_vgpr55_vgpr56_vgpr57_vgpr58_vgpr59_vgpr60_vgpr61_vgpr62_vgpr63_vgpr64_vgpr65_vgpr66_vgpr67_vgpr68_vgpr69_vgpr70_vgpr71_vgpr72_vgpr73
                                        ; kill: killed $vgpr42_vgpr43_vgpr44_vgpr45_vgpr46_vgpr47_vgpr48_vgpr49_vgpr50_vgpr51_vgpr52_vgpr53_vgpr54_vgpr55_vgpr56_vgpr57_vgpr58_vgpr59_vgpr60_vgpr61_vgpr62_vgpr63_vgpr64_vgpr65_vgpr66_vgpr67_vgpr68_vgpr69_vgpr70_vgpr71_vgpr72_vgpr73
                                        ; implicit-def: $vgpr42_vgpr43_vgpr44_vgpr45_vgpr46_vgpr47_vgpr48_vgpr49_vgpr50_vgpr51_vgpr52_vgpr53_vgpr54_vgpr55_vgpr56_vgpr57_vgpr58_vgpr59_vgpr60_vgpr61_vgpr62_vgpr63_vgpr64_vgpr65_vgpr66_vgpr67_vgpr68_vgpr69_vgpr70_vgpr71_vgpr72_vgpr73
                                        ; kill: killed $vgpr42_vgpr43_vgpr44_vgpr45_vgpr46_vgpr47_vgpr48_vgpr49_vgpr50_vgpr51_vgpr52_vgpr53_vgpr54_vgpr55_vgpr56_vgpr57_vgpr58_vgpr59_vgpr60_vgpr61_vgpr62_vgpr63_vgpr64_vgpr65_vgpr66_vgpr67_vgpr68_vgpr69_vgpr70_vgpr71_vgpr72_vgpr73
	;; [unrolled: 2-line block ×6, first 2 shown]
                                        ; implicit-def: $vgpr42_vgpr43_vgpr44_vgpr45_vgpr46_vgpr47_vgpr48_vgpr49_vgpr50_vgpr51_vgpr52_vgpr53_vgpr54_vgpr55_vgpr56_vgpr57_vgpr58_vgpr59_vgpr60_vgpr61_vgpr62_vgpr63_vgpr64_vgpr65_vgpr66_vgpr67_vgpr68_vgpr69_vgpr70_vgpr71_vgpr72_vgpr73
                                        ; implicit-def: $agpr44_agpr45_agpr46_agpr47_agpr48_agpr49_agpr50_agpr51_agpr52_agpr53_agpr54_agpr55_agpr56_agpr57_agpr58_agpr59_agpr60_agpr61_agpr62_agpr63_agpr64_agpr65_agpr66_agpr67_agpr68_agpr69_agpr70_agpr71_agpr72_agpr73_agpr74_agpr75
                                        ; kill: killed $vgpr42_vgpr43_vgpr44_vgpr45_vgpr46_vgpr47_vgpr48_vgpr49_vgpr50_vgpr51_vgpr52_vgpr53_vgpr54_vgpr55_vgpr56_vgpr57_vgpr58_vgpr59_vgpr60_vgpr61_vgpr62_vgpr63_vgpr64_vgpr65_vgpr66_vgpr67_vgpr68_vgpr69_vgpr70_vgpr71_vgpr72_vgpr73
                                        ; implicit-def: $vgpr42_vgpr43_vgpr44_vgpr45_vgpr46_vgpr47_vgpr48_vgpr49_vgpr50_vgpr51_vgpr52_vgpr53_vgpr54_vgpr55_vgpr56_vgpr57_vgpr58_vgpr59_vgpr60_vgpr61_vgpr62_vgpr63_vgpr64_vgpr65_vgpr66_vgpr67_vgpr68_vgpr69_vgpr70_vgpr71_vgpr72_vgpr73
                                        ; implicit-def: $agpr62_agpr63_agpr64_agpr65_agpr66_agpr67_agpr68_agpr69_agpr70_agpr71_agpr72_agpr73_agpr74_agpr75_agpr76_agpr77_agpr78_agpr79_agpr80_agpr81_agpr82_agpr83_agpr84_agpr85_agpr86_agpr87_agpr88_agpr89_agpr90_agpr91_agpr92_agpr93
                                        ; kill: killed $vgpr42_vgpr43_vgpr44_vgpr45_vgpr46_vgpr47_vgpr48_vgpr49_vgpr50_vgpr51_vgpr52_vgpr53_vgpr54_vgpr55_vgpr56_vgpr57_vgpr58_vgpr59_vgpr60_vgpr61_vgpr62_vgpr63_vgpr64_vgpr65_vgpr66_vgpr67_vgpr68_vgpr69_vgpr70_vgpr71_vgpr72_vgpr73
                                        ; implicit-def: $vgpr42_vgpr43_vgpr44_vgpr45_vgpr46_vgpr47_vgpr48_vgpr49_vgpr50_vgpr51_vgpr52_vgpr53_vgpr54_vgpr55_vgpr56_vgpr57_vgpr58_vgpr59_vgpr60_vgpr61_vgpr62_vgpr63_vgpr64_vgpr65_vgpr66_vgpr67_vgpr68_vgpr69_vgpr70_vgpr71_vgpr72_vgpr73
                                        ; implicit-def: $agpr172_agpr173_agpr174_agpr175_agpr176_agpr177_agpr178_agpr179_agpr180_agpr181_agpr182_agpr183_agpr184_agpr185_agpr186_agpr187_agpr188_agpr189_agpr190_agpr191_agpr192_agpr193_agpr194_agpr195_agpr196_agpr197_agpr198_agpr199_agpr200_agpr201_agpr202_agpr203
                                        ; implicit-def: $agpr78_agpr79_agpr80_agpr81_agpr82_agpr83_agpr84_agpr85_agpr86_agpr87_agpr88_agpr89_agpr90_agpr91_agpr92_agpr93_agpr94_agpr95_agpr96_agpr97_agpr98_agpr99_agpr100_agpr101_agpr102_agpr103_agpr104_agpr105_agpr106_agpr107_agpr108_agpr109
                                        ; implicit-def: $agpr126_agpr127_agpr128_agpr129_agpr130_agpr131_agpr132_agpr133_agpr134_agpr135_agpr136_agpr137_agpr138_agpr139_agpr140_agpr141_agpr142_agpr143_agpr144_agpr145_agpr146_agpr147_agpr148_agpr149_agpr150_agpr151_agpr152_agpr153_agpr154_agpr155_agpr156_agpr157
                                        ; kill: killed $vgpr42_vgpr43_vgpr44_vgpr45_vgpr46_vgpr47_vgpr48_vgpr49_vgpr50_vgpr51_vgpr52_vgpr53_vgpr54_vgpr55_vgpr56_vgpr57_vgpr58_vgpr59_vgpr60_vgpr61_vgpr62_vgpr63_vgpr64_vgpr65_vgpr66_vgpr67_vgpr68_vgpr69_vgpr70_vgpr71_vgpr72_vgpr73
                                        ; implicit-def: $vgpr42_vgpr43_vgpr44_vgpr45_vgpr46_vgpr47_vgpr48_vgpr49_vgpr50_vgpr51_vgpr52_vgpr53_vgpr54_vgpr55_vgpr56_vgpr57_vgpr58_vgpr59_vgpr60_vgpr61_vgpr62_vgpr63_vgpr64_vgpr65_vgpr66_vgpr67_vgpr68_vgpr69_vgpr70_vgpr71_vgpr72_vgpr73
	v_mov_b32_e32 v214, 3
	v_mov_b32_e32 v215, 4
                                        ; implicit-def: $vgpr156_vgpr157_vgpr158_vgpr159_vgpr160_vgpr161_vgpr162_vgpr163_vgpr164_vgpr165_vgpr166_vgpr167_vgpr168_vgpr169_vgpr170_vgpr171_vgpr172_vgpr173_vgpr174_vgpr175_vgpr176_vgpr177_vgpr178_vgpr179_vgpr180_vgpr181_vgpr182_vgpr183_vgpr184_vgpr185_vgpr186_vgpr187
                                        ; implicit-def: $agpr140_agpr141_agpr142_agpr143_agpr144_agpr145_agpr146_agpr147_agpr148_agpr149_agpr150_agpr151_agpr152_agpr153_agpr154_agpr155_agpr156_agpr157_agpr158_agpr159_agpr160_agpr161_agpr162_agpr163_agpr164_agpr165_agpr166_agpr167_agpr168_agpr169_agpr170_agpr171
                                        ; implicit-def: $agpr28_agpr29_agpr30_agpr31_agpr32_agpr33_agpr34_agpr35_agpr36_agpr37_agpr38_agpr39_agpr40_agpr41_agpr42_agpr43_agpr44_agpr45_agpr46_agpr47_agpr48_agpr49_agpr50_agpr51_agpr52_agpr53_agpr54_agpr55_agpr56_agpr57_agpr58_agpr59
                                        ; kill: killed $vgpr42_vgpr43_vgpr44_vgpr45_vgpr46_vgpr47_vgpr48_vgpr49_vgpr50_vgpr51_vgpr52_vgpr53_vgpr54_vgpr55_vgpr56_vgpr57_vgpr58_vgpr59_vgpr60_vgpr61_vgpr62_vgpr63_vgpr64_vgpr65_vgpr66_vgpr67_vgpr68_vgpr69_vgpr70_vgpr71_vgpr72_vgpr73
                                        ; implicit-def: $vgpr42_vgpr43_vgpr44_vgpr45_vgpr46_vgpr47_vgpr48_vgpr49_vgpr50_vgpr51_vgpr52_vgpr53_vgpr54_vgpr55_vgpr56_vgpr57_vgpr58_vgpr59_vgpr60_vgpr61_vgpr62_vgpr63_vgpr64_vgpr65_vgpr66_vgpr67_vgpr68_vgpr69_vgpr70_vgpr71_vgpr72_vgpr73
                                        ; implicit-def: $agpr218_agpr219_agpr220_agpr221_agpr222_agpr223_agpr224_agpr225_agpr226_agpr227_agpr228_agpr229_agpr230_agpr231_agpr232_agpr233_agpr234_agpr235_agpr236_agpr237_agpr238_agpr239_agpr240_agpr241_agpr242_agpr243_agpr244_agpr245_agpr246_agpr247_agpr248_agpr249
                                        ; implicit-def: $agpr186_agpr187_agpr188_agpr189_agpr190_agpr191_agpr192_agpr193_agpr194_agpr195_agpr196_agpr197_agpr198_agpr199_agpr200_agpr201_agpr202_agpr203_agpr204_agpr205_agpr206_agpr207_agpr208_agpr209_agpr210_agpr211_agpr212_agpr213_agpr214_agpr215_agpr216_agpr217
                                        ; implicit-def: $agpr90_agpr91_agpr92_agpr93_agpr94_agpr95_agpr96_agpr97_agpr98_agpr99_agpr100_agpr101_agpr102_agpr103_agpr104_agpr105_agpr106_agpr107_agpr108_agpr109_agpr110_agpr111_agpr112_agpr113_agpr114_agpr115_agpr116_agpr117_agpr118_agpr119_agpr120_agpr121
                                        ; implicit-def: $vgpr172_vgpr173_vgpr174_vgpr175_vgpr176_vgpr177_vgpr178_vgpr179_vgpr180_vgpr181_vgpr182_vgpr183_vgpr184_vgpr185_vgpr186_vgpr187_vgpr188_vgpr189_vgpr190_vgpr191_vgpr192_vgpr193_vgpr194_vgpr195_vgpr196_vgpr197_vgpr198_vgpr199_vgpr200_vgpr201_vgpr202_vgpr203
                                        ; implicit-def: $vgpr216_vgpr217_vgpr218_vgpr219_vgpr220_vgpr221_vgpr222_vgpr223_vgpr224_vgpr225_vgpr226_vgpr227_vgpr228_vgpr229_vgpr230_vgpr231_vgpr232_vgpr233_vgpr234_vgpr235_vgpr236_vgpr237_vgpr238_vgpr239_vgpr240_vgpr241_vgpr242_vgpr243_vgpr244_vgpr245_vgpr246_vgpr247
                                        ; implicit-def: $vgpr134_vgpr135_vgpr136_vgpr137_vgpr138_vgpr139_vgpr140_vgpr141_vgpr142_vgpr143_vgpr144_vgpr145_vgpr146_vgpr147_vgpr148_vgpr149_vgpr150_vgpr151_vgpr152_vgpr153_vgpr154_vgpr155_vgpr156_vgpr157_vgpr158_vgpr159_vgpr160_vgpr161_vgpr162_vgpr163_vgpr164_vgpr165
                                        ; implicit-def: $vgpr100_vgpr101_vgpr102_vgpr103_vgpr104_vgpr105_vgpr106_vgpr107_vgpr108_vgpr109_vgpr110_vgpr111_vgpr112_vgpr113_vgpr114_vgpr115_vgpr116_vgpr117_vgpr118_vgpr119_vgpr120_vgpr121_vgpr122_vgpr123_vgpr124_vgpr125_vgpr126_vgpr127_vgpr128_vgpr129_vgpr130_vgpr131
                                        ; implicit-def: $agpr0_agpr1_agpr2_agpr3_agpr4_agpr5_agpr6_agpr7_agpr8_agpr9_agpr10_agpr11_agpr12_agpr13_agpr14_agpr15_agpr16_agpr17_agpr18_agpr19_agpr20_agpr21_agpr22_agpr23_agpr24_agpr25_agpr26_agpr27_agpr28_agpr29_agpr30_agpr31
                                        ; kill: killed $vgpr42_vgpr43_vgpr44_vgpr45_vgpr46_vgpr47_vgpr48_vgpr49_vgpr50_vgpr51_vgpr52_vgpr53_vgpr54_vgpr55_vgpr56_vgpr57_vgpr58_vgpr59_vgpr60_vgpr61_vgpr62_vgpr63_vgpr64_vgpr65_vgpr66_vgpr67_vgpr68_vgpr69_vgpr70_vgpr71_vgpr72_vgpr73
                                        ; implicit-def: $agpr200_agpr201_agpr202_agpr203_agpr204_agpr205_agpr206_agpr207_agpr208_agpr209_agpr210_agpr211_agpr212_agpr213_agpr214_agpr215_agpr216_agpr217_agpr218_agpr219_agpr220_agpr221_agpr222_agpr223_agpr224_agpr225_agpr226_agpr227_agpr228_agpr229_agpr230_agpr231
                                        ; implicit-def: $vgpr42_vgpr43_vgpr44_vgpr45_vgpr46_vgpr47_vgpr48_vgpr49_vgpr50_vgpr51_vgpr52_vgpr53_vgpr54_vgpr55_vgpr56_vgpr57_vgpr58_vgpr59_vgpr60_vgpr61_vgpr62_vgpr63_vgpr64_vgpr65_vgpr66_vgpr67_vgpr68_vgpr69_vgpr70_vgpr71_vgpr72_vgpr73
                                        ; kill: killed $vgpr42_vgpr43_vgpr44_vgpr45_vgpr46_vgpr47_vgpr48_vgpr49_vgpr50_vgpr51_vgpr52_vgpr53_vgpr54_vgpr55_vgpr56_vgpr57_vgpr58_vgpr59_vgpr60_vgpr61_vgpr62_vgpr63_vgpr64_vgpr65_vgpr66_vgpr67_vgpr68_vgpr69_vgpr70_vgpr71_vgpr72_vgpr73
                                        ; implicit-def: $agpr152_agpr153_agpr154_agpr155_agpr156_agpr157_agpr158_agpr159_agpr160_agpr161_agpr162_agpr163_agpr164_agpr165_agpr166_agpr167_agpr168_agpr169_agpr170_agpr171_agpr172_agpr173_agpr174_agpr175_agpr176_agpr177_agpr178_agpr179_agpr180_agpr181_agpr182_agpr183
                                        ; implicit-def: $agpr106_agpr107_agpr108_agpr109_agpr110_agpr111_agpr112_agpr113_agpr114_agpr115_agpr116_agpr117_agpr118_agpr119_agpr120_agpr121_agpr122_agpr123_agpr124_agpr125_agpr126_agpr127_agpr128_agpr129_agpr130_agpr131_agpr132_agpr133_agpr134_agpr135_agpr136_agpr137
	s_waitcnt vmcnt(8)
	v_cndmask_b32_e64 v5, v29, v27, s[6:7]
	v_cndmask_b32_e64 v6, v29, v27, s[8:9]
	s_waitcnt vmcnt(6)
	v_cndmask_b32_e64 v5, v5, v25, s[12:13]
	v_cndmask_b32_e64 v7, v28, v26, s[6:7]
	v_cndmask_b32_e64 v6, v6, v25, s[10:11]
	v_cndmask_b32_e64 v14, v5, v0, s[16:17]
	v_cndmask_b32_e64 v15, v7, v24, s[12:13]
	v_cndmask_b32_e64 v16, v6, v0, s[14:15]
	buffer_load_dword v4, v12, s[0:3], 0 offen
	buffer_load_dword v5, v12, s[0:3], 0 offen offset:4
	buffer_load_dword v6, v13, s[0:3], 0 offen
	buffer_load_dword v7, v13, s[0:3], 0 offen offset:4
	v_cndmask_b32_e64 v8, v28, v26, s[8:9]
	s_waitcnt vmcnt(6)
	v_cndmask_b32_e64 v9, v37, v35, s[6:7]
	v_cndmask_b32_e64 v10, v36, v34, s[6:7]
	;; [unrolled: 1-line block ×4, first 2 shown]
	s_waitcnt vmcnt(4)
	v_cndmask_b32_e64 v9, v9, v31, s[12:13]
	v_cndmask_b32_e64 v10, v10, v30, s[12:13]
	;; [unrolled: 1-line block ×37, first 2 shown]
	v_add_f64 v[14:15], -v[0:1], 0
	v_add_f64 v[0:1], v[2:3], -v[0:1]
	v_div_scale_f64 v[2:3], s[44:45], v[0:1], v[0:1], v[14:15]
	v_rcp_f64_e32 v[16:17], v[2:3]
	v_cndmask_b32_e64 v12, v18, v0, s[38:39]
	v_div_scale_f64 v[18:19], vcc, v[14:15], v[0:1], v[14:15]
	v_fma_f64 v[20:21], -v[2:3], v[16:17], 1.0
	v_fmac_f64_e32 v[16:17], v[16:17], v[20:21]
	v_fma_f64 v[20:21], -v[2:3], v[16:17], 1.0
	v_fmac_f64_e32 v[16:17], v[16:17], v[20:21]
	v_mul_f64 v[20:21], v[18:19], v[16:17]
	v_fma_f64 v[2:3], -v[2:3], v[20:21], v[18:19]
	v_div_fmas_f64 v[2:3], v[2:3], v[16:17], v[20:21]
	v_div_fixup_f64 v[0:1], v[2:3], v[0:1], v[14:15]
	v_add_f64 v[2:3], -v[0:1], 1.0
	v_mul_f64 v[14:15], v[10:11], v[2:3]
	v_fmac_f64_e32 v[14:15], v[8:9], v[0:1]
	v_cndmask_b32_e64 v8, v22, v0, s[18:19]
	v_cndmask_b32_e64 v8, v8, v0, s[20:21]
	;; [unrolled: 1-line block ×14, first 2 shown]
	v_mul_f64 v[16:17], v[8:9], v[2:3]
	v_cndmask_b32_e64 v8, v253, v249, s[6:7]
	v_cndmask_b32_e64 v10, v10, v255, s[10:11]
	;; [unrolled: 1-line block ×31, first 2 shown]
	v_mul_f64 v[40:41], v[10:11], v[2:3]
	v_cndmask_b32_e64 v10, v33, v251, s[8:9]
	v_fmac_f64_e32 v[40:41], v[8:9], v[0:1]
	v_cndmask_b32_e64 v8, v33, v251, s[6:7]
	v_cndmask_b32_e64 v10, v10, v205, s[10:11]
	;; [unrolled: 1-line block ×31, first 2 shown]
	v_mul_f64 v[98:99], v[10:11], v[2:3]
	v_fmac_f64_e32 v[16:17], v[12:13], v[0:1]
	v_fmac_f64_e32 v[98:99], v[8:9], v[0:1]
	s_waitcnt vmcnt(2)
	v_add_f64 v[0:1], -v[4:5], 0
	s_waitcnt vmcnt(0)
	v_add_f64 v[2:3], v[6:7], -v[4:5]
	v_div_scale_f64 v[4:5], s[6:7], v[2:3], v[2:3], v[0:1]
	v_rcp_f64_e32 v[6:7], v[4:5]
	v_cmp_eq_u32_e64 s[6:7], 2, v210
	v_cmp_eq_u32_e64 s[8:9], 3, v210
	;; [unrolled: 1-line block ×3, first 2 shown]
	v_fma_f64 v[8:9], -v[4:5], v[6:7], 1.0
	v_fmac_f64_e32 v[6:7], v[6:7], v[8:9]
	v_fma_f64 v[8:9], -v[4:5], v[6:7], 1.0
	v_fmac_f64_e32 v[6:7], v[6:7], v[8:9]
	v_div_scale_f64 v[8:9], vcc, v[0:1], v[2:3], v[0:1]
	v_mul_f64 v[10:11], v[8:9], v[6:7]
	v_fma_f64 v[4:5], -v[4:5], v[10:11], v[8:9]
	v_cmp_eq_u32_e64 s[12:13], 5, v210
	s_nop 0
	v_div_fmas_f64 v[4:5], v[4:5], v[6:7], v[10:11]
	v_cmp_eq_u32_e32 vcc, 1, v210
	v_div_fixup_f64 v[0:1], v[4:5], v[2:3], v[0:1]
	v_cndmask_b32_e32 v2, v29, v27, vcc
	v_cndmask_b32_e64 v2, v2, v25, s[6:7]
	v_cndmask_b32_e64 v2, v2, v15, s[8:9]
	;; [unrolled: 1-line block ×4, first 2 shown]
	v_cmp_eq_u32_e64 s[14:15], 6, v210
	v_cndmask_b32_e64 v2, v2, v0, s[14:15]
	v_cmp_eq_u32_e64 s[16:17], 7, v210
	v_cmp_eq_u32_e64 s[20:21], 1, v212
	v_cndmask_b32_e64 v2, v2, v0, s[16:17]
	v_cmp_eq_u32_e64 s[18:19], 8, v210
	v_cndmask_b32_e64 v4, v29, v27, s[20:21]
	;; [unrolled: 2-line block ×3, first 2 shown]
	v_cndmask_b32_e32 v2, v28, v26, vcc
	v_cndmask_b32_e64 v4, v4, v25, s[22:23]
	v_cmp_eq_u32_e64 s[24:25], 3, v212
	v_cndmask_b32_e64 v2, v2, v24, s[6:7]
	v_cndmask_b32_e64 v4, v4, v15, s[24:25]
	v_cmp_eq_u32_e64 s[26:27], 4, v212
	v_cndmask_b32_e64 v2, v2, v14, s[8:9]
	;; [unrolled: 3-line block ×6, first 2 shown]
	v_cndmask_b32_e64 v5, v4, v0, s[36:37]
	v_cndmask_b32_e64 v4, v28, v26, s[20:21]
	;; [unrolled: 1-line block ×4, first 2 shown]
	v_pk_mov_b32 v[6:7], v[14:15], v[14:15] op_sel:[0,1]
	buffer_store_dword v0, off, s[0:3], 0 offset:224 ; 4-byte Folded Spill
	s_nop 0
	buffer_store_dword v1, off, s[0:3], 0 offset:228 ; 4-byte Folded Spill
	buffer_store_dword v2, off, s[0:3], 0 offset:232 ; 4-byte Folded Spill
	;; [unrolled: 1-line block ×31, first 2 shown]
	v_cndmask_b32_e64 v4, v4, v14, s[24:25]
	v_cndmask_b32_e64 v4, v4, v0, s[26:27]
	;; [unrolled: 1-line block ×6, first 2 shown]
	v_add_f64 v[6:7], -v[0:1], 1.0
	v_mul_f64 v[8:9], v[6:7], v[4:5]
	v_fmac_f64_e32 v[8:9], v[0:1], v[2:3]
	buffer_store_dword v0, off, s[0:3], 0 offset:96 ; 4-byte Folded Spill
	s_nop 0
	buffer_store_dword v1, off, s[0:3], 0 offset:100 ; 4-byte Folded Spill
	buffer_store_dword v2, off, s[0:3], 0 offset:104 ; 4-byte Folded Spill
	;; [unrolled: 1-line block ×31, first 2 shown]
	v_cndmask_b32_e32 v2, v37, v35, vcc
	v_cndmask_b32_e32 v3, v36, v34, vcc
	v_cndmask_b32_e64 v5, v36, v34, s[20:21]
	v_cndmask_b32_e64 v2, v2, v31, s[6:7]
	;; [unrolled: 1-line block ×23, first 2 shown]
	v_pk_mov_b32 v[8:9], v[16:17], v[16:17] op_sel:[0,1]
	buffer_store_dword v2, off, s[0:3], 0 offset:352 ; 4-byte Folded Spill
	s_nop 0
	buffer_store_dword v3, off, s[0:3], 0 offset:356 ; 4-byte Folded Spill
	buffer_store_dword v4, off, s[0:3], 0 offset:360 ; 4-byte Folded Spill
	;; [unrolled: 1-line block ×31, first 2 shown]
	v_cndmask_b32_e64 v5, v5, v16, s[24:25]
	v_cndmask_b32_e64 v5, v5, v0, s[26:27]
	;; [unrolled: 1-line block ×7, first 2 shown]
	v_mul_f64 v[8:9], v[6:7], v[4:5]
	v_fmac_f64_e32 v[8:9], v[0:1], v[2:3]
	buffer_store_dword v0, off, s[0:3], 0 offset:608 ; 4-byte Folded Spill
	s_nop 0
	buffer_store_dword v1, off, s[0:3], 0 offset:612 ; 4-byte Folded Spill
	buffer_store_dword v2, off, s[0:3], 0 offset:616 ; 4-byte Folded Spill
	;; [unrolled: 1-line block ×31, first 2 shown]
	v_cndmask_b32_e32 v2, v253, v249, vcc
	v_cndmask_b32_e32 v3, v252, v248, vcc
	v_cndmask_b32_e64 v2, v2, v255, s[6:7]
	v_cndmask_b32_e64 v3, v3, v254, s[6:7]
	;; [unrolled: 1-line block ×30, first 2 shown]
	v_mul_f64 v[74:75], v[6:7], v[4:5]
	v_fmac_f64_e32 v[74:75], v[0:1], v[2:3]
	v_cndmask_b32_e32 v2, v33, v251, vcc
	v_cndmask_b32_e32 v3, v32, v250, vcc
	v_cndmask_b32_e64 v2, v2, v205, s[6:7]
	v_cndmask_b32_e64 v3, v3, v204, s[6:7]
	;; [unrolled: 1-line block ×30, first 2 shown]
	v_mul_f64 v[132:133], v[6:7], v[4:5]
	v_fmac_f64_e32 v[132:133], v[0:1], v[2:3]
	v_mov_b32_e32 v0, 5
	buffer_store_dword v0, off, s[0:3], 0 offset:84
                                        ; implicit-def: $vgpr0_vgpr1_vgpr2_vgpr3_vgpr4_vgpr5_vgpr6_vgpr7_vgpr8_vgpr9_vgpr10_vgpr11_vgpr12_vgpr13_vgpr14_vgpr15_vgpr16_vgpr17_vgpr18_vgpr19_vgpr20_vgpr21_vgpr22_vgpr23_vgpr24_vgpr25_vgpr26_vgpr27_vgpr28_vgpr29_vgpr30_vgpr31
.LBB4_10:
	s_or_b64 exec, exec, s[42:43]
	buffer_store_dword v211, off, s[0:3], 0 offset:80
	buffer_load_dword v106, off, s[0:3], 0 offset:2176 ; 4-byte Folded Reload
	buffer_load_dword v107, off, s[0:3], 0 offset:2180 ; 4-byte Folded Reload
	;; [unrolled: 1-line block ×12, first 2 shown]
	s_mov_b64 s[6:7], 0
	v_mov_b32_e32 v0, 0
	s_branch .LBB4_12
.LBB4_11:                               ;   in Loop: Header=BB4_12 Depth=1
	s_or_b64 exec, exec, s[10:11]
	s_waitcnt vmcnt(0)
	v_cmp_gt_i32_e32 vcc, 0, v1
	s_or_b64 s[6:7], vcc, s[6:7]
	v_mov_b32_e32 v0, v1
	s_andn2_b64 exec, exec, s[6:7]
	s_cbranch_execz .LBB4_18
.LBB4_12:                               ; =>This Inner Loop Header: Depth=1
	v_lshlrev_b32_e32 v1, 2, v0
	v_add_u32_e32 v3, 0, v1
	v_add_u32_e32 v2, v3, v1
	buffer_load_dword v4, v2, s[0:3], 0 offen
	buffer_load_dword v5, v2, s[0:3], 0 offen offset:4
	buffer_load_dword v1, v3, s[0:3], 0 offen offset:40
	s_mov_b64 s[8:9], 0
                                        ; implicit-def: $vgpr2
	s_waitcnt vmcnt(1)
	v_cmp_ngt_f64_e32 vcc, 0, v[4:5]
	s_and_saveexec_b64 s[10:11], vcc
	s_xor_b64 s[10:11], exec, s[10:11]
	s_cbranch_execnz .LBB4_15
; %bb.13:                               ;   in Loop: Header=BB4_12 Depth=1
	s_andn2_saveexec_b64 s[10:11], s[10:11]
	s_cbranch_execnz .LBB4_16
.LBB4_14:                               ;   in Loop: Header=BB4_12 Depth=1
	s_or_b64 exec, exec, s[10:11]
	s_and_saveexec_b64 s[10:11], s[8:9]
	s_cbranch_execz .LBB4_11
	s_branch .LBB4_17
.LBB4_15:                               ;   in Loop: Header=BB4_12 Depth=1
	buffer_load_dword v2, off, s[0:3], 0 offset:80
                                        ; implicit-def: $vgpr3
	s_waitcnt vmcnt(0)
	v_cmp_eq_u32_e32 vcc, -1, v2
	v_mov_b32_e32 v2, 0x50
	s_and_b64 s[8:9], vcc, exec
	s_andn2_saveexec_b64 s[10:11], s[10:11]
	s_cbranch_execz .LBB4_14
.LBB4_16:                               ;   in Loop: Header=BB4_12 Depth=1
	buffer_load_dword v4, off, s[0:3], 0 offset:84
	v_mov_b32_e32 v2, 0x54
	s_or_b64 s[8:9], s[8:9], exec
	s_waitcnt vmcnt(0)
	buffer_store_dword v4, v3, s[0:3], 0 offen offset:40
	s_or_b64 exec, exec, s[10:11]
	s_and_saveexec_b64 s[10:11], s[8:9]
	s_cbranch_execz .LBB4_11
.LBB4_17:                               ;   in Loop: Header=BB4_12 Depth=1
	buffer_store_dword v0, v2, s[0:3], 0 offen
	s_branch .LBB4_11
.LBB4_18:
	s_or_b64 exec, exec, s[6:7]
	s_and_saveexec_b64 s[6:7], s[4:5]
	s_cbranch_execz .LBB4_20
; %bb.19:
	v_mov_b32_e32 v0, 0
	v_cmp_gt_f64_e32 vcc, 0, v[206:207]
	v_lshl_add_u32 v1, v209, 2, v0
	s_or_b64 s[4:5], s[40:41], vcc
	v_lshl_add_u32 v2, v214, 2, v0
	v_cndmask_b32_e64 v3, v210, -1, s[4:5]
	v_lshl_add_u32 v0, v215, 2, v0
	buffer_store_dword v214, v1, s[0:3], 0 offen offset:40
	buffer_store_dword v215, v2, s[0:3], 0 offen offset:40
	;; [unrolled: 1-line block ×3, first 2 shown]
.LBB4_20:
	s_or_b64 exec, exec, s[6:7]
	buffer_load_dword v10, off, s[0:3], 0 offset:80
	buffer_load_dword a12, off, s[0:3], 0 offset:224 ; 4-byte Folded Reload
	buffer_load_dword a13, off, s[0:3], 0 offset:228 ; 4-byte Folded Reload
	;; [unrolled: 1-line block ×32, first 2 shown]
	v_accvgpr_read_b32 v11, a117
	v_accvgpr_read_b32 v13, a165
	;; [unrolled: 1-line block ×5, first 2 shown]
	v_pk_mov_b32 v[4:5], -1, -1
	s_waitcnt vmcnt(32)
	v_cmp_eq_u32_e32 vcc, 1, v10
	s_waitcnt vmcnt(24)
	v_accvgpr_read_b32 v6, a18
	v_accvgpr_read_b32 v7, a19
	buffer_load_dword a12, off, s[0:3], 0 offset:96 ; 4-byte Folded Reload
	buffer_load_dword a13, off, s[0:3], 0 offset:100 ; 4-byte Folded Reload
	;; [unrolled: 1-line block ×64, first 2 shown]
	v_cndmask_b32_e32 v0, v113, v109, vcc
	v_cmp_eq_u32_e64 s[4:5], 2, v10
	v_cndmask_b32_e64 v0, v0, v107, s[4:5]
	v_cmp_eq_u32_e64 s[6:7], 3, v10
	v_cndmask_b32_e32 v1, v112, v108, vcc
	v_cndmask_b32_e64 v0, v0, v7, s[6:7]
	v_cndmask_b32_e64 v1, v1, v106, s[4:5]
	v_cmp_eq_u32_e32 vcc, 4, v10
	v_cndmask_b32_e64 v1, v1, v6, s[6:7]
	v_cmp_eq_u32_e64 s[4:5], 5, v10
	v_pk_mov_b32 v[6:7], v[4:5], v[4:5] op_sel:[0,1]
	s_waitcnt vmcnt(54)
	v_accvgpr_read_b32 v8, a20
	v_accvgpr_read_b32 v9, a21
	v_cndmask_b32_e32 v0, v0, v9, vcc
	v_cndmask_b32_e64 v0, v0, v11, s[4:5]
	v_cndmask_b32_e32 v1, v1, v8, vcc
	v_cmp_eq_u32_e32 vcc, 6, v10
	v_cndmask_b32_e32 v0, v0, v13, vcc
	v_cndmask_b32_e64 v1, v1, v12, s[4:5]
	v_cmp_eq_u32_e64 s[4:5], 7, v10
	v_accvgpr_read_b32 v12, a198
	v_cndmask_b32_e64 v0, v0, v15, s[4:5]
	v_cndmask_b32_e32 v1, v1, v12, vcc
	v_cmp_eq_u32_e32 vcc, 8, v10
	s_waitcnt vmcnt(14)
	v_cndmask_b32_e32 v3, v0, v59, vcc
	buffer_load_dword v42, off, s[0:3], 0 offset:1888 ; 4-byte Folded Reload
	buffer_load_dword v43, off, s[0:3], 0 offset:1892 ; 4-byte Folded Reload
	;; [unrolled: 1-line block ×32, first 2 shown]
	v_cndmask_b32_e64 v1, v1, v14, s[4:5]
	v_cmp_lt_i32_e64 s[4:5], -1, v10
	v_mov_b32_e32 v11, -1
	v_mov_b32_e32 v12, -1
	s_waitcnt vmcnt(15)
	v_cndmask_b32_e32 v2, v1, v58, vcc
	v_pk_mov_b32 v[0:1], 0, 0
	s_and_saveexec_b64 s[14:15], s[4:5]
	s_cbranch_execz .LBB4_24
; %bb.21:
	buffer_load_dword a12, off, s[0:3], 0 offset:224 ; 4-byte Folded Reload
	buffer_load_dword a13, off, s[0:3], 0 offset:228 ; 4-byte Folded Reload
	;; [unrolled: 1-line block ×32, first 2 shown]
	s_mov_b64 s[16:17], 0
	v_mov_b32_e32 v11, -1
	v_mov_b32_e32 v5, v10
	v_mov_b32_e32 v4, -1
	v_mov_b32_e32 v6, -1
	;; [unrolled: 1-line block ×3, first 2 shown]
	v_pk_mov_b32 v[8:9], v[2:3], v[2:3] op_sel:[0,1]
	v_accvgpr_read_b32 v23, a105
	v_accvgpr_read_b32 v25, a165
	;; [unrolled: 1-line block ×6, first 2 shown]
	s_waitcnt vmcnt(24)
	v_accvgpr_read_b32 v18, a18
	v_accvgpr_read_b32 v19, a19
	buffer_load_dword a12, off, s[0:3], 0 offset:96 ; 4-byte Folded Reload
	buffer_load_dword a13, off, s[0:3], 0 offset:100 ; 4-byte Folded Reload
	;; [unrolled: 1-line block ×64, first 2 shown]
	s_waitcnt vmcnt(54)
	v_accvgpr_read_b32 v20, a20
	s_waitcnt vmcnt(14)
	v_mov_b32_e32 v17, v59
	buffer_load_dword v42, off, s[0:3], 0 offset:1888 ; 4-byte Folded Reload
	buffer_load_dword v43, off, s[0:3], 0 offset:1892 ; 4-byte Folded Reload
	;; [unrolled: 1-line block ×32, first 2 shown]
	v_accvgpr_read_b32 v21, a21
	s_waitcnt vmcnt(15)
	v_mov_b32_e32 v22, v58
.LBB4_22:                               ; =>This Inner Loop Header: Depth=1
	v_lshl_add_u32 v0, v5, 2, v208
	buffer_load_dword v7, v0, s[0:3], 0 offen
	s_waitcnt vmcnt(0)
	v_cmp_gt_i32_e32 vcc, 0, v7
	v_cndmask_b32_e32 v13, v7, v10, vcc
	v_cmp_eq_u32_e64 s[6:7], 1, v13
	v_cndmask_b32_e64 v0, v113, v109, s[6:7]
	v_cmp_eq_u32_e64 s[8:9], 2, v13
	v_cndmask_b32_e64 v1, v112, v108, s[6:7]
	v_cndmask_b32_e64 v0, v0, v107, s[8:9]
	v_cmp_eq_u32_e64 s[10:11], 3, v13
	v_cndmask_b32_e64 v1, v1, v106, s[8:9]
	;; [unrolled: 3-line block ×6, first 2 shown]
	v_cndmask_b32_e64 v0, v0, v23, s[8:9]
	v_cndmask_b32_e64 v1, v1, v24, s[8:9]
	v_cmp_eq_u32_e64 s[6:7], 8, v13
	v_cndmask_b32_e64 v15, v0, v17, s[6:7]
	v_cndmask_b32_e64 v14, v1, v22, s[6:7]
	v_pk_mov_b32 v[0:1], v[8:9], v[8:9] op_sel:[0,1]
	v_cmp_le_f64_e64 s[6:7], 0, v[0:1]
	v_cmp_gt_f64_e64 s[8:9], 0, v[0:1]
	v_cmp_gt_f64_e64 s[10:11], 0, v[14:15]
	v_cmp_le_f64_e64 s[12:13], 0, v[14:15]
	s_and_b64 s[6:7], s[6:7], s[10:11]
	s_and_b64 s[8:9], s[8:9], s[12:13]
	v_cndmask_b32_e64 v6, v6, v13, s[6:7]
	v_cndmask_b32_e64 v12, v12, v13, s[8:9]
	;; [unrolled: 1-line block ×4, first 2 shown]
	s_or_b64 s[16:17], vcc, s[16:17]
	v_mov_b32_e32 v5, v7
	v_pk_mov_b32 v[8:9], v[14:15], v[14:15] op_sel:[0,1]
	s_andn2_b64 exec, exec, s[16:17]
	s_cbranch_execnz .LBB4_22
; %bb.23:
	s_or_b64 exec, exec, s[16:17]
.LBB4_24:
	s_or_b64 exec, exec, s[14:15]
	v_cmp_lt_i32_e64 s[6:7], -1, v11
	v_mov_b32_e32 v8, -1
	v_mov_b32_e32 v7, -1
	;; [unrolled: 1-line block ×3, first 2 shown]
	s_and_saveexec_b64 s[56:57], s[6:7]
	s_cbranch_execz .LBB4_26
; %bb.25:
	buffer_load_dword a12, off, s[0:3], 0 offset:224 ; 4-byte Folded Reload
	buffer_load_dword a13, off, s[0:3], 0 offset:228 ; 4-byte Folded Reload
	;; [unrolled: 1-line block ×32, first 2 shown]
	v_cmp_eq_u32_e64 s[8:9], 1, v6
	v_cndmask_b32_e64 v5, v113, v109, s[8:9]
	v_cmp_eq_u32_e64 s[10:11], 2, v6
	v_cndmask_b32_e64 v5, v5, v107, s[10:11]
	v_cmp_eq_u32_e64 s[12:13], 3, v6
	v_cmp_eq_u32_e64 s[14:15], 4, v6
	;; [unrolled: 1-line block ×3, first 2 shown]
	v_accvgpr_read_b32 v49, a117
	v_cmp_eq_u32_e64 s[18:19], 6, v6
	v_accvgpr_read_b32 v47, a165
	v_cmp_eq_u32_e64 s[20:21], 7, v6
	;; [unrolled: 2-line block ×3, first 2 shown]
	v_cmp_eq_u32_e64 s[24:25], 1, v11
	v_cndmask_b32_e64 v6, v112, v108, s[8:9]
	v_cmp_eq_u32_e64 s[26:27], 2, v11
	v_cndmask_b32_e64 v9, v112, v108, s[24:25]
	v_cndmask_b32_e64 v6, v6, v106, s[10:11]
	v_cmp_eq_u32_e64 s[28:29], 3, v11
	v_cndmask_b32_e64 v9, v9, v106, s[26:27]
	v_cmp_eq_u32_e64 s[30:31], 4, v11
	v_accvgpr_read_b32 v50, a210
	v_cmp_eq_u32_e64 s[34:35], 5, v11
	v_accvgpr_read_b32 v48, a198
	;; [unrolled: 2-line block ×3, first 2 shown]
	v_cmp_eq_u32_e64 s[38:39], 7, v11
	v_cmp_eq_u32_e64 s[42:43], 8, v11
	s_waitcnt vmcnt(42)
	v_accvgpr_read_b32 v63, a151
	v_accvgpr_read_b32 v61, a139
	s_waitcnt vmcnt(32)
	v_accvgpr_read_b32 v73, a89
	v_accvgpr_read_b32 v71, a185
	;; [unrolled: 3-line block ×3, first 2 shown]
	buffer_load_dword a12, off, s[0:3], 0 offset:96 ; 4-byte Folded Reload
	buffer_load_dword a13, off, s[0:3], 0 offset:100 ; 4-byte Folded Reload
	;; [unrolled: 1-line block ×32, first 2 shown]
	v_cndmask_b32_e64 v5, v5, v39, s[12:13]
	v_cndmask_b32_e64 v6, v6, v38, s[12:13]
	;; [unrolled: 1-line block ×3, first 2 shown]
	s_waitcnt vmcnt(22)
	v_accvgpr_read_b32 v43, a21
	v_accvgpr_read_b32 v42, a20
	buffer_load_dword a12, off, s[0:3], 0 offset:2016 ; 4-byte Folded Reload
	buffer_load_dword a13, off, s[0:3], 0 offset:2020 ; 4-byte Folded Reload
	;; [unrolled: 1-line block ×32, first 2 shown]
	v_cndmask_b32_e64 v5, v5, v43, s[14:15]
	v_cndmask_b32_e64 v5, v5, v49, s[16:17]
	;; [unrolled: 1-line block ×12, first 2 shown]
	s_waitcnt vmcnt(14)
	v_accvgpr_read_b32 v17, a29
	buffer_load_dword a12, off, s[0:3], 0 offset:1888 ; 4-byte Folded Reload
	buffer_load_dword a13, off, s[0:3], 0 offset:1892 ; 4-byte Folded Reload
	buffer_load_dword a14, off, s[0:3], 0 offset:1896 ; 4-byte Folded Reload
	buffer_load_dword a15, off, s[0:3], 0 offset:1900 ; 4-byte Folded Reload
	buffer_load_dword a16, off, s[0:3], 0 offset:1904 ; 4-byte Folded Reload
	buffer_load_dword a17, off, s[0:3], 0 offset:1908 ; 4-byte Folded Reload
	buffer_load_dword a18, off, s[0:3], 0 offset:1912 ; 4-byte Folded Reload
	buffer_load_dword a19, off, s[0:3], 0 offset:1916 ; 4-byte Folded Reload
	buffer_load_dword a20, off, s[0:3], 0 offset:1920 ; 4-byte Folded Reload
	buffer_load_dword a21, off, s[0:3], 0 offset:1924 ; 4-byte Folded Reload
	buffer_load_dword a22, off, s[0:3], 0 offset:1928 ; 4-byte Folded Reload
	buffer_load_dword a23, off, s[0:3], 0 offset:1932 ; 4-byte Folded Reload
	buffer_load_dword a24, off, s[0:3], 0 offset:1936 ; 4-byte Folded Reload
	buffer_load_dword a25, off, s[0:3], 0 offset:1940 ; 4-byte Folded Reload
	buffer_load_dword a26, off, s[0:3], 0 offset:1944 ; 4-byte Folded Reload
	buffer_load_dword a27, off, s[0:3], 0 offset:1948 ; 4-byte Folded Reload
	buffer_load_dword a28, off, s[0:3], 0 offset:1952 ; 4-byte Folded Reload
	buffer_load_dword a29, off, s[0:3], 0 offset:1956 ; 4-byte Folded Reload
	buffer_load_dword a30, off, s[0:3], 0 offset:1960 ; 4-byte Folded Reload
	buffer_load_dword a31, off, s[0:3], 0 offset:1964 ; 4-byte Folded Reload
	buffer_load_dword a32, off, s[0:3], 0 offset:1968 ; 4-byte Folded Reload
	buffer_load_dword a33, off, s[0:3], 0 offset:1972 ; 4-byte Folded Reload
	buffer_load_dword a34, off, s[0:3], 0 offset:1976 ; 4-byte Folded Reload
	buffer_load_dword a35, off, s[0:3], 0 offset:1980 ; 4-byte Folded Reload
	buffer_load_dword a36, off, s[0:3], 0 offset:1984 ; 4-byte Folded Reload
	buffer_load_dword a37, off, s[0:3], 0 offset:1988 ; 4-byte Folded Reload
	buffer_load_dword a38, off, s[0:3], 0 offset:1992 ; 4-byte Folded Reload
	buffer_load_dword a39, off, s[0:3], 0 offset:1996 ; 4-byte Folded Reload
	buffer_load_dword a40, off, s[0:3], 0 offset:2000 ; 4-byte Folded Reload
	buffer_load_dword a41, off, s[0:3], 0 offset:2004 ; 4-byte Folded Reload
	buffer_load_dword a42, off, s[0:3], 0 offset:2008 ; 4-byte Folded Reload
	buffer_load_dword a43, off, s[0:3], 0 offset:2012 ; 4-byte Folded Reload
	v_cndmask_b32_e64 v7, v5, v17, s[22:23]
	v_cndmask_b32_e64 v5, v113, v109, s[24:25]
	;; [unrolled: 1-line block ×11, first 2 shown]
	s_waitcnt vmcnt(15)
	v_accvgpr_read_b32 v44, a28
	v_cndmask_b32_e64 v6, v6, v44, s[22:23]
	v_cndmask_b32_e64 v14, v9, v44, s[42:43]
	v_add_f64 v[18:19], -v[6:7], 0
	v_add_f64 v[20:21], v[14:15], -v[6:7]
	v_div_scale_f64 v[22:23], s[40:41], v[20:21], v[20:21], v[18:19]
	v_rcp_f64_e32 v[24:25], v[22:23]
	v_fma_f64 v[26:27], -v[22:23], v[24:25], 1.0
	v_fmac_f64_e32 v[24:25], v[24:25], v[26:27]
	v_fma_f64 v[26:27], -v[22:23], v[24:25], 1.0
	v_fmac_f64_e32 v[24:25], v[24:25], v[26:27]
	v_div_scale_f64 v[26:27], vcc, v[18:19], v[20:21], v[18:19]
	v_mul_f64 v[28:29], v[26:27], v[24:25]
	v_fma_f64 v[22:23], -v[22:23], v[28:29], v[26:27]
	s_nop 1
	v_div_fmas_f64 v[22:23], v[22:23], v[24:25], v[28:29]
	v_div_fixup_f64 v[30:31], v[22:23], v[20:21], v[18:19]
	v_add_f64 v[34:35], -v[30:31], 1.0
	v_mul_f64 v[36:37], v[6:7], v[34:35]
	buffer_load_dword v7, off, s[0:3], 0 offset:84
	buffer_load_dword a12, off, s[0:3], 0 offset:352 ; 4-byte Folded Reload
	buffer_load_dword a13, off, s[0:3], 0 offset:356 ; 4-byte Folded Reload
	;; [unrolled: 1-line block ×32, first 2 shown]
	v_fmac_f64_e32 v[36:37], v[14:15], v[30:31]
	v_cndmask_b32_e64 v22, v118, v116, s[8:9]
	v_cndmask_b32_e64 v20, v118, v116, s[24:25]
	;; [unrolled: 1-line block ×4, first 2 shown]
	v_accvgpr_read_b32 v24, a44
	s_waitcnt vmcnt(32)
	v_cmp_eq_u32_e64 s[46:47], 7, v7
	v_cmp_eq_u32_e32 vcc, 4, v7
	v_cndmask_b32_e64 v9, v46, v36, s[46:47]
	v_cndmask_b32_e32 v29, v42, v36, vcc
	v_cndmask_b32_e32 v46, v43, v37, vcc
	s_waitcnt vmcnt(24)
	v_accvgpr_read_b32 v43, a19
	v_accvgpr_read_b32 v42, a18
	buffer_load_dword a12, off, s[0:3], 0 offset:608 ; 4-byte Folded Reload
	buffer_load_dword a13, off, s[0:3], 0 offset:612 ; 4-byte Folded Reload
	;; [unrolled: 1-line block ×32, first 2 shown]
	v_cmp_eq_u32_e64 s[50:51], 5, v7
	v_cndmask_b32_e64 v14, v50, v36, s[50:51]
	v_cndmask_b32_e64 v15, v49, v37, s[50:51]
	v_accvgpr_read_b32 v49, a11
	v_cndmask_b32_e64 v18, v45, v37, s[46:47]
	v_cmp_eq_u32_e64 s[44:45], 8, v7
	v_cndmask_b32_e64 v6, v44, v36, s[44:45]
	v_cndmask_b32_e64 v5, v5, v43, s[28:29]
	;; [unrolled: 1-line block ×4, first 2 shown]
	v_cmp_eq_u32_e64 s[48:49], 6, v7
	v_cmp_eq_u32_e64 s[40:41], 3, v7
	v_cndmask_b32_e64 v13, v48, v36, s[48:49]
	v_cndmask_b32_e64 v19, v17, v37, s[44:45]
	;; [unrolled: 1-line block ×5, first 2 shown]
	s_waitcnt vmcnt(22)
	v_accvgpr_read_b32 v51, a21
	v_accvgpr_read_b32 v50, a20
	buffer_load_dword a0, off, s[0:3], 0 offset:1760 ; 4-byte Folded Reload
	buffer_load_dword a1, off, s[0:3], 0 offset:1764 ; 4-byte Folded Reload
	;; [unrolled: 1-line block ×32, first 2 shown]
	v_cndmask_b32_e64 v5, v5, v51, s[30:31]
	v_cndmask_b32_e64 v5, v5, v49, s[34:35]
	;; [unrolled: 1-line block ×4, first 2 shown]
	s_waitcnt vmcnt(18)
	v_accvgpr_read_b32 v45, a13
	buffer_load_dword a0, off, s[0:3], 0 offset:1632 ; 4-byte Folded Reload
	buffer_load_dword a1, off, s[0:3], 0 offset:1636 ; 4-byte Folded Reload
	buffer_load_dword a2, off, s[0:3], 0 offset:1640 ; 4-byte Folded Reload
	buffer_load_dword a3, off, s[0:3], 0 offset:1644 ; 4-byte Folded Reload
	buffer_load_dword a4, off, s[0:3], 0 offset:1648 ; 4-byte Folded Reload
	buffer_load_dword a5, off, s[0:3], 0 offset:1652 ; 4-byte Folded Reload
	buffer_load_dword a6, off, s[0:3], 0 offset:1656 ; 4-byte Folded Reload
	buffer_load_dword a7, off, s[0:3], 0 offset:1660 ; 4-byte Folded Reload
	buffer_load_dword a8, off, s[0:3], 0 offset:1664 ; 4-byte Folded Reload
	buffer_load_dword a9, off, s[0:3], 0 offset:1668 ; 4-byte Folded Reload
	buffer_load_dword a10, off, s[0:3], 0 offset:1672 ; 4-byte Folded Reload
	buffer_load_dword a11, off, s[0:3], 0 offset:1676 ; 4-byte Folded Reload
	buffer_load_dword a12, off, s[0:3], 0 offset:1680 ; 4-byte Folded Reload
	buffer_load_dword a13, off, s[0:3], 0 offset:1684 ; 4-byte Folded Reload
	buffer_load_dword a14, off, s[0:3], 0 offset:1688 ; 4-byte Folded Reload
	buffer_load_dword a15, off, s[0:3], 0 offset:1692 ; 4-byte Folded Reload
	buffer_load_dword a16, off, s[0:3], 0 offset:1696 ; 4-byte Folded Reload
	buffer_load_dword a17, off, s[0:3], 0 offset:1700 ; 4-byte Folded Reload
	buffer_load_dword a18, off, s[0:3], 0 offset:1704 ; 4-byte Folded Reload
	buffer_load_dword a19, off, s[0:3], 0 offset:1708 ; 4-byte Folded Reload
	buffer_load_dword a20, off, s[0:3], 0 offset:1712 ; 4-byte Folded Reload
	buffer_load_dword a21, off, s[0:3], 0 offset:1716 ; 4-byte Folded Reload
	buffer_load_dword a22, off, s[0:3], 0 offset:1720 ; 4-byte Folded Reload
	buffer_load_dword a23, off, s[0:3], 0 offset:1724 ; 4-byte Folded Reload
	buffer_load_dword a24, off, s[0:3], 0 offset:1728 ; 4-byte Folded Reload
	buffer_load_dword a25, off, s[0:3], 0 offset:1732 ; 4-byte Folded Reload
	buffer_load_dword a26, off, s[0:3], 0 offset:1736 ; 4-byte Folded Reload
	buffer_load_dword a27, off, s[0:3], 0 offset:1740 ; 4-byte Folded Reload
	buffer_load_dword a28, off, s[0:3], 0 offset:1744 ; 4-byte Folded Reload
	buffer_load_dword a29, off, s[0:3], 0 offset:1748 ; 4-byte Folded Reload
	buffer_load_dword a30, off, s[0:3], 0 offset:1752 ; 4-byte Folded Reload
	buffer_load_dword a31, off, s[0:3], 0 offset:1756 ; 4-byte Folded Reload
	v_cndmask_b32_e64 v5, v5, v45, s[36:37]
	s_waitcnt vmcnt(16)
	v_accvgpr_read_b32 v27, a15
	buffer_load_dword a0, off, s[0:3], 0 offset:1504 ; 4-byte Folded Reload
	buffer_load_dword a1, off, s[0:3], 0 offset:1508 ; 4-byte Folded Reload
	buffer_load_dword a2, off, s[0:3], 0 offset:1512 ; 4-byte Folded Reload
	buffer_load_dword a3, off, s[0:3], 0 offset:1516 ; 4-byte Folded Reload
	buffer_load_dword a4, off, s[0:3], 0 offset:1520 ; 4-byte Folded Reload
	buffer_load_dword a5, off, s[0:3], 0 offset:1524 ; 4-byte Folded Reload
	buffer_load_dword a6, off, s[0:3], 0 offset:1528 ; 4-byte Folded Reload
	buffer_load_dword a7, off, s[0:3], 0 offset:1532 ; 4-byte Folded Reload
	buffer_load_dword a8, off, s[0:3], 0 offset:1536 ; 4-byte Folded Reload
	buffer_load_dword a9, off, s[0:3], 0 offset:1540 ; 4-byte Folded Reload
	buffer_load_dword a10, off, s[0:3], 0 offset:1544 ; 4-byte Folded Reload
	buffer_load_dword a11, off, s[0:3], 0 offset:1548 ; 4-byte Folded Reload
	buffer_load_dword a12, off, s[0:3], 0 offset:1552 ; 4-byte Folded Reload
	buffer_load_dword a13, off, s[0:3], 0 offset:1556 ; 4-byte Folded Reload
	buffer_load_dword a14, off, s[0:3], 0 offset:1560 ; 4-byte Folded Reload
	buffer_load_dword a15, off, s[0:3], 0 offset:1564 ; 4-byte Folded Reload
	buffer_load_dword a16, off, s[0:3], 0 offset:1568 ; 4-byte Folded Reload
	buffer_load_dword a17, off, s[0:3], 0 offset:1572 ; 4-byte Folded Reload
	buffer_load_dword a18, off, s[0:3], 0 offset:1576 ; 4-byte Folded Reload
	buffer_load_dword a19, off, s[0:3], 0 offset:1580 ; 4-byte Folded Reload
	buffer_load_dword a20, off, s[0:3], 0 offset:1584 ; 4-byte Folded Reload
	buffer_load_dword a21, off, s[0:3], 0 offset:1588 ; 4-byte Folded Reload
	buffer_load_dword a22, off, s[0:3], 0 offset:1592 ; 4-byte Folded Reload
	buffer_load_dword a23, off, s[0:3], 0 offset:1596 ; 4-byte Folded Reload
	buffer_load_dword a24, off, s[0:3], 0 offset:1600 ; 4-byte Folded Reload
	buffer_load_dword a25, off, s[0:3], 0 offset:1604 ; 4-byte Folded Reload
	buffer_load_dword a26, off, s[0:3], 0 offset:1608 ; 4-byte Folded Reload
	buffer_load_dword a27, off, s[0:3], 0 offset:1612 ; 4-byte Folded Reload
	buffer_load_dword a28, off, s[0:3], 0 offset:1616 ; 4-byte Folded Reload
	buffer_load_dword a29, off, s[0:3], 0 offset:1620 ; 4-byte Folded Reload
	buffer_load_dword a30, off, s[0:3], 0 offset:1624 ; 4-byte Folded Reload
	buffer_load_dword a31, off, s[0:3], 0 offset:1628 ; 4-byte Folded Reload
	v_cndmask_b32_e64 v5, v5, v27, s[38:39]
	s_waitcnt vmcnt(21)
	v_accvgpr_read_b32 v44, a10
	buffer_load_dword a0, off, s[0:3], 0 offset:1376 ; 4-byte Folded Reload
	buffer_load_dword a1, off, s[0:3], 0 offset:1380 ; 4-byte Folded Reload
	buffer_load_dword a2, off, s[0:3], 0 offset:1384 ; 4-byte Folded Reload
	buffer_load_dword a3, off, s[0:3], 0 offset:1388 ; 4-byte Folded Reload
	buffer_load_dword a4, off, s[0:3], 0 offset:1392 ; 4-byte Folded Reload
	buffer_load_dword a5, off, s[0:3], 0 offset:1396 ; 4-byte Folded Reload
	buffer_load_dword a6, off, s[0:3], 0 offset:1400 ; 4-byte Folded Reload
	buffer_load_dword a7, off, s[0:3], 0 offset:1404 ; 4-byte Folded Reload
	buffer_load_dword a8, off, s[0:3], 0 offset:1408 ; 4-byte Folded Reload
	buffer_load_dword a9, off, s[0:3], 0 offset:1412 ; 4-byte Folded Reload
	buffer_load_dword a10, off, s[0:3], 0 offset:1416 ; 4-byte Folded Reload
	buffer_load_dword a11, off, s[0:3], 0 offset:1420 ; 4-byte Folded Reload
	buffer_load_dword a12, off, s[0:3], 0 offset:1424 ; 4-byte Folded Reload
	buffer_load_dword a13, off, s[0:3], 0 offset:1428 ; 4-byte Folded Reload
	buffer_load_dword a14, off, s[0:3], 0 offset:1432 ; 4-byte Folded Reload
	buffer_load_dword a15, off, s[0:3], 0 offset:1436 ; 4-byte Folded Reload
	buffer_load_dword a16, off, s[0:3], 0 offset:1440 ; 4-byte Folded Reload
	buffer_load_dword a17, off, s[0:3], 0 offset:1444 ; 4-byte Folded Reload
	buffer_load_dword a18, off, s[0:3], 0 offset:1448 ; 4-byte Folded Reload
	buffer_load_dword a19, off, s[0:3], 0 offset:1452 ; 4-byte Folded Reload
	buffer_load_dword a20, off, s[0:3], 0 offset:1456 ; 4-byte Folded Reload
	buffer_load_dword a21, off, s[0:3], 0 offset:1460 ; 4-byte Folded Reload
	buffer_load_dword a22, off, s[0:3], 0 offset:1464 ; 4-byte Folded Reload
	buffer_load_dword a23, off, s[0:3], 0 offset:1468 ; 4-byte Folded Reload
	buffer_load_dword a24, off, s[0:3], 0 offset:1472 ; 4-byte Folded Reload
	buffer_load_dword a25, off, s[0:3], 0 offset:1476 ; 4-byte Folded Reload
	buffer_load_dword a26, off, s[0:3], 0 offset:1480 ; 4-byte Folded Reload
	buffer_load_dword a27, off, s[0:3], 0 offset:1484 ; 4-byte Folded Reload
	buffer_load_dword a28, off, s[0:3], 0 offset:1488 ; 4-byte Folded Reload
	buffer_load_dword a29, off, s[0:3], 0 offset:1492 ; 4-byte Folded Reload
	buffer_load_dword a30, off, s[0:3], 0 offset:1496 ; 4-byte Folded Reload
	buffer_load_dword a31, off, s[0:3], 0 offset:1500 ; 4-byte Folded Reload
	v_cndmask_b32_e64 v22, v22, v44, s[16:17]
	v_cndmask_b32_e64 v20, v20, v44, s[34:35]
	s_waitcnt vmcnt(19)
	v_accvgpr_read_b32 v28, a12
	buffer_load_dword a0, off, s[0:3], 0 offset:1248 ; 4-byte Folded Reload
	buffer_load_dword a1, off, s[0:3], 0 offset:1252 ; 4-byte Folded Reload
	;; [unrolled: 1-line block ×32, first 2 shown]
	v_cndmask_b32_e64 v22, v22, v28, s[18:19]
	v_cndmask_b32_e64 v20, v20, v28, s[36:37]
	s_waitcnt vmcnt(17)
	v_accvgpr_read_b32 v26, a14
	buffer_load_dword a0, off, s[0:3], 0 offset:1120 ; 4-byte Folded Reload
	buffer_load_dword a1, off, s[0:3], 0 offset:1124 ; 4-byte Folded Reload
	;; [unrolled: 1-line block ×32, first 2 shown]
	v_cndmask_b32_e64 v22, v22, v26, s[20:21]
	v_cndmask_b32_e64 v20, v20, v26, s[38:39]
	;; [unrolled: 1-line block ×4, first 2 shown]
	s_waitcnt vmcnt(14)
	v_accvgpr_read_b32 v25, a17
	buffer_load_dword a0, off, s[0:3], 0 offset:992 ; 4-byte Folded Reload
	buffer_load_dword a1, off, s[0:3], 0 offset:996 ; 4-byte Folded Reload
	;; [unrolled: 1-line block ×32, first 2 shown]
	v_cndmask_b32_e64 v21, v5, v25, s[42:43]
	v_cndmask_b32_e64 v5, v119, v117, s[8:9]
	v_cndmask_b32_e64 v5, v5, v115, s[10:11]
	v_cndmask_b32_e64 v5, v5, v43, s[12:13]
	v_cndmask_b32_e64 v5, v5, v51, s[14:15]
	v_cndmask_b32_e64 v5, v5, v49, s[16:17]
	v_cndmask_b32_e64 v5, v5, v45, s[18:19]
	v_cndmask_b32_e64 v5, v5, v27, s[20:21]
	v_cndmask_b32_e64 v23, v5, v25, s[22:23]
	v_mul_f64 v[38:39], v[22:23], v[34:35]
	v_fmac_f64_e32 v[38:39], v[20:21], v[30:31]
	v_cndmask_b32_e64 v22, v28, v38, s[48:49]
	v_cndmask_b32_e64 v28, v25, v39, s[44:45]
	;; [unrolled: 1-line block ×3, first 2 shown]
	v_cndmask_b32_e32 v49, v50, v38, vcc
	v_cndmask_b32_e32 v50, v51, v39, vcc
	v_cndmask_b32_e64 v5, v253, v249, s[24:25]
	v_cndmask_b32_e64 v5, v5, v255, s[26:27]
	;; [unrolled: 1-line block ×19, first 2 shown]
	s_waitcnt vmcnt(16)
	v_accvgpr_read_b32 v59, a15
	buffer_load_dword a0, off, s[0:3], 0 offset:864 ; 4-byte Folded Reload
	buffer_load_dword a1, off, s[0:3], 0 offset:868 ; 4-byte Folded Reload
	buffer_load_dword a2, off, s[0:3], 0 offset:872 ; 4-byte Folded Reload
	buffer_load_dword a3, off, s[0:3], 0 offset:876 ; 4-byte Folded Reload
	buffer_load_dword a4, off, s[0:3], 0 offset:880 ; 4-byte Folded Reload
	buffer_load_dword a5, off, s[0:3], 0 offset:884 ; 4-byte Folded Reload
	buffer_load_dword a6, off, s[0:3], 0 offset:888 ; 4-byte Folded Reload
	buffer_load_dword a7, off, s[0:3], 0 offset:892 ; 4-byte Folded Reload
	buffer_load_dword a8, off, s[0:3], 0 offset:896 ; 4-byte Folded Reload
	buffer_load_dword a9, off, s[0:3], 0 offset:900 ; 4-byte Folded Reload
	buffer_load_dword a10, off, s[0:3], 0 offset:904 ; 4-byte Folded Reload
	buffer_load_dword a11, off, s[0:3], 0 offset:908 ; 4-byte Folded Reload
	buffer_load_dword a12, off, s[0:3], 0 offset:912 ; 4-byte Folded Reload
	buffer_load_dword a13, off, s[0:3], 0 offset:916 ; 4-byte Folded Reload
	buffer_load_dword a14, off, s[0:3], 0 offset:920 ; 4-byte Folded Reload
	buffer_load_dword a15, off, s[0:3], 0 offset:924 ; 4-byte Folded Reload
	buffer_load_dword a16, off, s[0:3], 0 offset:928 ; 4-byte Folded Reload
	buffer_load_dword a17, off, s[0:3], 0 offset:932 ; 4-byte Folded Reload
	buffer_load_dword a18, off, s[0:3], 0 offset:936 ; 4-byte Folded Reload
	buffer_load_dword a19, off, s[0:3], 0 offset:940 ; 4-byte Folded Reload
	buffer_load_dword a20, off, s[0:3], 0 offset:944 ; 4-byte Folded Reload
	buffer_load_dword a21, off, s[0:3], 0 offset:948 ; 4-byte Folded Reload
	buffer_load_dword a22, off, s[0:3], 0 offset:952 ; 4-byte Folded Reload
	buffer_load_dword a23, off, s[0:3], 0 offset:956 ; 4-byte Folded Reload
	buffer_load_dword a24, off, s[0:3], 0 offset:960 ; 4-byte Folded Reload
	buffer_load_dword a25, off, s[0:3], 0 offset:964 ; 4-byte Folded Reload
	buffer_load_dword a26, off, s[0:3], 0 offset:968 ; 4-byte Folded Reload
	buffer_load_dword a27, off, s[0:3], 0 offset:972 ; 4-byte Folded Reload
	buffer_load_dword a28, off, s[0:3], 0 offset:976 ; 4-byte Folded Reload
	buffer_load_dword a29, off, s[0:3], 0 offset:980 ; 4-byte Folded Reload
	buffer_load_dword a30, off, s[0:3], 0 offset:984 ; 4-byte Folded Reload
	buffer_load_dword a31, off, s[0:3], 0 offset:988 ; 4-byte Folded Reload
	v_cndmask_b32_e64 v5, v5, v59, s[38:39]
	s_waitcnt vmcnt(17)
	v_accvgpr_read_b32 v56, a14
	buffer_load_dword a0, off, s[0:3], 0 offset:736 ; 4-byte Folded Reload
	buffer_load_dword a1, off, s[0:3], 0 offset:740 ; 4-byte Folded Reload
	buffer_load_dword a2, off, s[0:3], 0 offset:744 ; 4-byte Folded Reload
	buffer_load_dword a3, off, s[0:3], 0 offset:748 ; 4-byte Folded Reload
	buffer_load_dword a4, off, s[0:3], 0 offset:752 ; 4-byte Folded Reload
	buffer_load_dword a5, off, s[0:3], 0 offset:756 ; 4-byte Folded Reload
	buffer_load_dword a6, off, s[0:3], 0 offset:760 ; 4-byte Folded Reload
	buffer_load_dword a7, off, s[0:3], 0 offset:764 ; 4-byte Folded Reload
	buffer_load_dword a8, off, s[0:3], 0 offset:768 ; 4-byte Folded Reload
	buffer_load_dword a9, off, s[0:3], 0 offset:772 ; 4-byte Folded Reload
	buffer_load_dword a10, off, s[0:3], 0 offset:776 ; 4-byte Folded Reload
	buffer_load_dword a11, off, s[0:3], 0 offset:780 ; 4-byte Folded Reload
	buffer_load_dword a12, off, s[0:3], 0 offset:784 ; 4-byte Folded Reload
	buffer_load_dword a13, off, s[0:3], 0 offset:788 ; 4-byte Folded Reload
	buffer_load_dword a14, off, s[0:3], 0 offset:792 ; 4-byte Folded Reload
	buffer_load_dword a15, off, s[0:3], 0 offset:796 ; 4-byte Folded Reload
	buffer_load_dword a16, off, s[0:3], 0 offset:800 ; 4-byte Folded Reload
	buffer_load_dword a17, off, s[0:3], 0 offset:804 ; 4-byte Folded Reload
	buffer_load_dword a18, off, s[0:3], 0 offset:808 ; 4-byte Folded Reload
	buffer_load_dword a19, off, s[0:3], 0 offset:812 ; 4-byte Folded Reload
	buffer_load_dword a20, off, s[0:3], 0 offset:816 ; 4-byte Folded Reload
	buffer_load_dword a21, off, s[0:3], 0 offset:820 ; 4-byte Folded Reload
	buffer_load_dword a22, off, s[0:3], 0 offset:824 ; 4-byte Folded Reload
	buffer_load_dword a23, off, s[0:3], 0 offset:828 ; 4-byte Folded Reload
	buffer_load_dword a24, off, s[0:3], 0 offset:832 ; 4-byte Folded Reload
	buffer_load_dword a25, off, s[0:3], 0 offset:836 ; 4-byte Folded Reload
	buffer_load_dword a26, off, s[0:3], 0 offset:840 ; 4-byte Folded Reload
	buffer_load_dword a27, off, s[0:3], 0 offset:844 ; 4-byte Folded Reload
	buffer_load_dword a28, off, s[0:3], 0 offset:848 ; 4-byte Folded Reload
	buffer_load_dword a29, off, s[0:3], 0 offset:852 ; 4-byte Folded Reload
	buffer_load_dword a30, off, s[0:3], 0 offset:856 ; 4-byte Folded Reload
	buffer_load_dword a31, off, s[0:3], 0 offset:860 ; 4-byte Folded Reload
	v_cndmask_b32_e64 v20, v20, v56, s[38:39]
	;; [unrolled: 35-line block ×3, first 2 shown]
	v_cndmask_b32_e64 v5, v253, v249, s[8:9]
	v_cndmask_b32_e64 v5, v5, v255, s[10:11]
	;; [unrolled: 1-line block ×14, first 2 shown]
	s_waitcnt vmcnt(15)
	v_accvgpr_read_b32 v54, a16
	v_cndmask_b32_e64 v42, v20, v54, s[42:43]
	v_cndmask_b32_e64 v20, v252, v248, s[8:9]
	;; [unrolled: 1-line block ×11, first 2 shown]
	v_mul_f64 v[44:45], v[44:45], v[34:35]
	v_cndmask_b32_e64 v20, v20, v98, s[12:13]
	v_fmac_f64_e32 v[44:45], v[42:43], v[30:31]
	v_cndmask_b32_e64 v20, v20, v132, s[14:15]
	v_cndmask_b32_e64 v58, v51, v45, s[44:45]
	v_accvgpr_read_b32 v51, a77
	v_cndmask_b32_e64 v20, v20, v226, s[16:17]
	v_cndmask_b32_e64 v5, v5, v51, s[20:21]
	;; [unrolled: 1-line block ×3, first 2 shown]
	v_accvgpr_read_b32 v43, a61
	v_cndmask_b32_e64 v65, v41, v45, s[40:41]
	v_cndmask_b32_e64 v20, v20, v170, s[20:21]
	;; [unrolled: 1-line block ×18, first 2 shown]
	v_mul_f64 v[34:35], v[40:41], v[34:35]
	v_cndmask_b32_e64 v20, v20, v170, s[38:39]
	v_cndmask_b32_e64 v41, v5, v43, s[42:43]
	v_mov_b32_e32 v5, 0
	v_cndmask_b32_e64 v40, v20, v16, s[42:43]
	v_lshl_add_u32 v20, v7, 2, v5
	buffer_load_dword v20, v20, s[0:3], 0 offen offset:40
	v_cndmask_b32_e32 v62, v74, v44, vcc
	v_cmp_eq_u32_e64 s[28:29], 1, v7
	v_cmp_eq_u32_e64 s[34:35], 0, v7
	v_fmac_f64_e32 v[34:35], v[40:41], v[30:31]
	v_cmp_eq_u32_e64 s[8:9], 2, v7
	v_cndmask_b32_e64 v77, v109, v37, s[28:29]
	v_cndmask_b32_e64 v78, v113, v37, s[34:35]
	v_cmp_eq_u32_e64 s[24:25], 1, v12
	v_cndmask_b32_e64 v76, v107, v37, s[8:9]
	v_cndmask_b32_e64 v93, v32, v34, s[34:35]
	;; [unrolled: 1-line block ×3, first 2 shown]
	v_cmp_eq_u32_e64 s[26:27], 2, v12
	v_cndmask_b32_e64 v32, v32, v76, s[26:27]
	v_cmp_eq_u32_e64 s[30:31], 3, v12
	v_cndmask_b32_e64 v32, v32, v48, s[30:31]
	v_cmp_eq_u32_e64 s[36:37], 4, v12
	v_cndmask_b32_e64 v90, v98, v34, s[40:41]
	v_cndmask_b32_e64 v95, v99, v35, s[40:41]
	v_cndmask_b32_e64 v32, v32, v46, s[36:37]
	v_cmp_eq_u32_e64 s[40:41], 5, v12
	v_cndmask_b32_e64 v54, v54, v44, s[44:45]
	v_cndmask_b32_e64 v16, v16, v34, s[44:45]
	;; [unrolled: 1-line block ×4, first 2 shown]
	v_cmp_eq_u32_e64 s[44:45], 6, v12
	v_cndmask_b32_e64 v55, v56, v44, s[46:47]
	v_cndmask_b32_e64 v59, v59, v45, s[46:47]
	;; [unrolled: 1-line block ×5, first 2 shown]
	v_cmp_eq_u32_e64 s[46:47], 7, v12
	v_cndmask_b32_e64 v56, v146, v44, s[48:49]
	v_cndmask_b32_e64 v60, v61, v45, s[48:49]
	;; [unrolled: 1-line block ×3, first 2 shown]
	v_cndmask_b32_e32 v63, v75, v45, vcc
	v_cndmask_b32_e64 v67, v184, v34, s[48:49]
	v_cndmask_b32_e64 v71, v71, v35, s[48:49]
	;; [unrolled: 1-line block ×12, first 2 shown]
	v_cmp_eq_u32_e64 s[8:9], 1, v4
	v_cndmask_b32_e64 v32, v32, v18, s[46:47]
	v_cmp_eq_u32_e64 s[48:49], 8, v12
	v_cmp_eq_u32_e64 s[10:11], 2, v4
	;; [unrolled: 1-line block ×8, first 2 shown]
	v_cndmask_b32_e64 v4, v75, v73, s[8:9]
	v_cndmask_b32_e64 v37, v32, v19, s[48:49]
	;; [unrolled: 1-line block ×22, first 2 shown]
	s_waitcnt vmcnt(0)
	v_lshl_add_u32 v5, v20, 2, v5
	buffer_load_dword v74, v5, s[0:3], 0 offen offset:40
	v_cndmask_b32_e64 v5, v78, v77, s[8:9]
	v_cndmask_b32_e64 v5, v5, v76, s[10:11]
	;; [unrolled: 1-line block ×8, first 2 shown]
	v_add_f64 v[30:31], -v[4:5], 0
	v_add_f64 v[38:39], v[36:37], -v[4:5]
	v_div_scale_f64 v[40:41], s[38:39], v[38:39], v[38:39], v[30:31]
	v_rcp_f64_e32 v[42:43], v[40:41]
	v_cndmask_b32_e32 v89, v132, v34, vcc
	v_cndmask_b32_e32 v94, v133, v35, vcc
	v_cndmask_b32_e64 v68, v226, v34, s[50:51]
	v_fma_f64 v[32:33], -v[40:41], v[42:43], 1.0
	v_fmac_f64_e32 v[42:43], v[42:43], v[32:33]
	v_fma_f64 v[32:33], -v[40:41], v[42:43], 1.0
	v_fmac_f64_e32 v[42:43], v[42:43], v[32:33]
	v_div_scale_f64 v[32:33], vcc, v[30:31], v[38:39], v[30:31]
	v_cndmask_b32_e64 v92, v250, v34, s[28:29]
	v_cndmask_b32_e64 v97, v251, v35, s[28:29]
	v_mul_f64 v[34:35], v[32:33], v[42:43]
	v_fma_f64 v[32:33], -v[40:41], v[34:35], v[32:33]
	v_div_fmas_f64 v[32:33], v[32:33], v[42:43], v[34:35]
	v_div_fixup_f64 v[30:31], v[32:33], v[38:39], v[30:31]
	v_add_f64 v[32:33], -v[30:31], 1.0
	v_mul_f64 v[4:5], v[4:5], v[32:33]
	v_fmac_f64_e32 v[4:5], v[36:37], v[30:31]
	v_cmp_eq_u32_e32 vcc, 4, v20
	v_cndmask_b32_e64 v57, v110, v44, s[50:51]
	v_cndmask_b32_e64 v86, v248, v44, s[28:29]
	;; [unrolled: 1-line block ×5, first 2 shown]
	v_cndmask_b32_e32 v35, v46, v5, vcc
	v_cndmask_b32_e32 v34, v29, v4, vcc
	v_cmp_eq_u32_e64 s[28:29], 3, v20
	v_cmp_eq_u32_e64 s[34:35], 2, v20
	;; [unrolled: 1-line block ×4, first 2 shown]
	v_cndmask_b32_e64 v107, v76, v5, s[34:35]
	v_cndmask_b32_e64 v109, v77, v5, s[38:39]
	;; [unrolled: 1-line block ×5, first 2 shown]
	s_waitcnt vmcnt(0)
	buffer_store_dword v74, off, s[0:3], 0 offset:84
	buffer_store_dword v26, off, s[0:3], 0 offset:96 ; 4-byte Folded Spill
	s_nop 0
	buffer_store_dword v27, off, s[0:3], 0 offset:100 ; 4-byte Folded Spill
	buffer_store_dword v28, off, s[0:3], 0 offset:104 ; 4-byte Folded Spill
	;; [unrolled: 1-line block ×31, first 2 shown]
	v_cndmask_b32_e64 v35, v48, v5, s[28:29]
	v_cndmask_b32_e64 v34, v47, v4, s[28:29]
	buffer_store_dword v28, off, s[0:3], 0 offset:224 ; 4-byte Folded Spill
	s_nop 0
	buffer_store_dword v29, off, s[0:3], 0 offset:228 ; 4-byte Folded Spill
	buffer_store_dword v30, off, s[0:3], 0 offset:232 ; 4-byte Folded Spill
	;; [unrolled: 1-line block ×31, first 2 shown]
	v_cndmask_b32_e64 v29, v84, v83, s[24:25]
	v_cndmask_b32_e64 v29, v29, v82, s[26:27]
	;; [unrolled: 1-line block ×38, first 2 shown]
	v_mul_f64 v[36:37], v[36:37], v[32:33]
	v_cndmask_b32_e64 v29, v29, v59, s[46:47]
	v_fmac_f64_e32 v[36:37], v[34:35], v[30:31]
	v_cndmask_b32_e64 v35, v29, v58, s[48:49]
	v_cndmask_b32_e64 v29, v44, v86, s[24:25]
	;; [unrolled: 1-line block ×31, first 2 shown]
	v_mul_f64 v[38:39], v[38:39], v[32:33]
	v_cndmask_b32_e64 v29, v29, v70, s[46:47]
	v_fmac_f64_e32 v[38:39], v[34:35], v[30:31]
	v_cndmask_b32_e64 v35, v29, v69, s[48:49]
	v_cndmask_b32_e64 v29, v93, v92, s[24:25]
	;; [unrolled: 1-line block ×25, first 2 shown]
	v_mul_f64 v[42:43], v[40:41], v[32:33]
	v_fmac_f64_e32 v[42:43], v[34:35], v[30:31]
	v_cndmask_b32_e32 v31, v50, v37, vcc
	v_cndmask_b32_e32 v30, v49, v36, vcc
	v_cndmask_b32_e64 v106, v51, v4, s[34:35]
	buffer_store_dword v22, off, s[0:3], 0 offset:608 ; 4-byte Folded Spill
	s_nop 0
	buffer_store_dword v23, off, s[0:3], 0 offset:612 ; 4-byte Folded Spill
	buffer_store_dword v24, off, s[0:3], 0 offset:616 ; 4-byte Folded Spill
	;; [unrolled: 1-line block ×31, first 2 shown]
	v_cmp_eq_u32_e64 s[12:13], 8, v20
	v_cndmask_b32_e64 v19, v19, v5, s[12:13]
	v_cmp_eq_u32_e64 s[8:9], 6, v20
	v_cmp_eq_u32_e64 s[10:11], 5, v20
	v_cndmask_b32_e64 v31, v53, v37, s[28:29]
	v_cndmask_b32_e64 v30, v52, v36, s[28:29]
	buffer_store_dword v24, off, s[0:3], 0 offset:352 ; 4-byte Folded Spill
	s_nop 0
	buffer_store_dword v25, off, s[0:3], 0 offset:356 ; 4-byte Folded Spill
	buffer_store_dword v26, off, s[0:3], 0 offset:360 ; 4-byte Folded Spill
	buffer_store_dword v27, off, s[0:3], 0 offset:364 ; 4-byte Folded Spill
	buffer_store_dword v28, off, s[0:3], 0 offset:368 ; 4-byte Folded Spill
	buffer_store_dword v29, off, s[0:3], 0 offset:372 ; 4-byte Folded Spill
	buffer_store_dword v30, off, s[0:3], 0 offset:376 ; 4-byte Folded Spill
	buffer_store_dword v31, off, s[0:3], 0 offset:380 ; 4-byte Folded Spill
	buffer_store_dword v32, off, s[0:3], 0 offset:384 ; 4-byte Folded Spill
	buffer_store_dword v33, off, s[0:3], 0 offset:388 ; 4-byte Folded Spill
	buffer_store_dword v34, off, s[0:3], 0 offset:392 ; 4-byte Folded Spill
	buffer_store_dword v35, off, s[0:3], 0 offset:396 ; 4-byte Folded Spill
	buffer_store_dword v36, off, s[0:3], 0 offset:400 ; 4-byte Folded Spill
	buffer_store_dword v37, off, s[0:3], 0 offset:404 ; 4-byte Folded Spill
	buffer_store_dword v38, off, s[0:3], 0 offset:408 ; 4-byte Folded Spill
	buffer_store_dword v39, off, s[0:3], 0 offset:412 ; 4-byte Folded Spill
	buffer_store_dword v40, off, s[0:3], 0 offset:416 ; 4-byte Folded Spill
	buffer_store_dword v41, off, s[0:3], 0 offset:420 ; 4-byte Folded Spill
	buffer_store_dword v42, off, s[0:3], 0 offset:424 ; 4-byte Folded Spill
	buffer_store_dword v43, off, s[0:3], 0 offset:428 ; 4-byte Folded Spill
	buffer_store_dword v44, off, s[0:3], 0 offset:432 ; 4-byte Folded Spill
	buffer_store_dword v45, off, s[0:3], 0 offset:436 ; 4-byte Folded Spill
	buffer_store_dword v46, off, s[0:3], 0 offset:440 ; 4-byte Folded Spill
	buffer_store_dword v47, off, s[0:3], 0 offset:444 ; 4-byte Folded Spill
	buffer_store_dword v48, off, s[0:3], 0 offset:448 ; 4-byte Folded Spill
	buffer_store_dword v49, off, s[0:3], 0 offset:452 ; 4-byte Folded Spill
	buffer_store_dword v50, off, s[0:3], 0 offset:456 ; 4-byte Folded Spill
	buffer_store_dword v51, off, s[0:3], 0 offset:460 ; 4-byte Folded Spill
	buffer_store_dword v52, off, s[0:3], 0 offset:464 ; 4-byte Folded Spill
	buffer_store_dword v53, off, s[0:3], 0 offset:468 ; 4-byte Folded Spill
	buffer_store_dword v54, off, s[0:3], 0 offset:472 ; 4-byte Folded Spill
	buffer_store_dword v55, off, s[0:3], 0 offset:476 ; 4-byte Folded Spill
	v_cndmask_b32_e64 v33, v100, v43, s[42:43]
	v_cndmask_b32_e64 v32, v93, v42, s[42:43]
	v_cndmask_b32_e32 v75, v63, v39, vcc
	v_cndmask_b32_e32 v74, v62, v38, vcc
	;; [unrolled: 1-line block ×4, first 2 shown]
	v_cmp_eq_u32_e32 vcc, 7, v20
	buffer_store_dword v2, off, s[0:3], 0 offset:2016 ; 4-byte Folded Spill
	s_nop 0
	buffer_store_dword v3, off, s[0:3], 0 offset:2020 ; 4-byte Folded Spill
	buffer_store_dword v4, off, s[0:3], 0 offset:2024 ; 4-byte Folded Spill
	;; [unrolled: 1-line block ×31, first 2 shown]
	v_cndmask_b32_e64 v41, v65, v39, s[28:29]
	v_cndmask_b32_e64 v40, v64, v38, s[28:29]
	;; [unrolled: 1-line block ×21, first 2 shown]
	buffer_store_dword v14, off, s[0:3], 0 offset:1888 ; 4-byte Folded Spill
	s_nop 0
	buffer_store_dword v15, off, s[0:3], 0 offset:1892 ; 4-byte Folded Spill
	buffer_store_dword v16, off, s[0:3], 0 offset:1896 ; 4-byte Folded Spill
	;; [unrolled: 1-line block ×31, first 2 shown]
	v_cndmask_b32_e32 v19, v18, v5, vcc
	v_cndmask_b32_e32 v18, v9, v4, vcc
	v_cndmask_b32_e64 v17, v17, v5, s[8:9]
	v_accvgpr_write_b32 a232, v18
	v_accvgpr_write_b32 a165, v17
	v_cndmask_b32_e64 v18, v13, v4, s[8:9]
	v_cndmask_b32_e64 v13, v15, v5, s[10:11]
	;; [unrolled: 1-line block ×4, first 2 shown]
	v_accvgpr_write_b32 a105, v19
	v_accvgpr_write_b32 a198, v18
	;; [unrolled: 1-line block ×4, first 2 shown]
	buffer_store_dword v0, off, s[0:3], 0 offset:1120 ; 4-byte Folded Spill
	s_nop 0
	buffer_store_dword v1, off, s[0:3], 0 offset:1124 ; 4-byte Folded Spill
	buffer_store_dword v2, off, s[0:3], 0 offset:1128 ; 4-byte Folded Spill
	buffer_store_dword v3, off, s[0:3], 0 offset:1132 ; 4-byte Folded Spill
	buffer_store_dword v4, off, s[0:3], 0 offset:1136 ; 4-byte Folded Spill
	buffer_store_dword v5, off, s[0:3], 0 offset:1140 ; 4-byte Folded Spill
	buffer_store_dword v6, off, s[0:3], 0 offset:1144 ; 4-byte Folded Spill
	buffer_store_dword v7, off, s[0:3], 0 offset:1148 ; 4-byte Folded Spill
	buffer_store_dword v8, off, s[0:3], 0 offset:1152 ; 4-byte Folded Spill
	buffer_store_dword v9, off, s[0:3], 0 offset:1156 ; 4-byte Folded Spill
	buffer_store_dword v10, off, s[0:3], 0 offset:1160 ; 4-byte Folded Spill
	buffer_store_dword v11, off, s[0:3], 0 offset:1164 ; 4-byte Folded Spill
	buffer_store_dword v12, off, s[0:3], 0 offset:1168 ; 4-byte Folded Spill
	buffer_store_dword v13, off, s[0:3], 0 offset:1172 ; 4-byte Folded Spill
	buffer_store_dword v14, off, s[0:3], 0 offset:1176 ; 4-byte Folded Spill
	buffer_store_dword v15, off, s[0:3], 0 offset:1180 ; 4-byte Folded Spill
	buffer_store_dword v16, off, s[0:3], 0 offset:1184 ; 4-byte Folded Spill
	buffer_store_dword v17, off, s[0:3], 0 offset:1188 ; 4-byte Folded Spill
	buffer_store_dword v18, off, s[0:3], 0 offset:1192 ; 4-byte Folded Spill
	buffer_store_dword v19, off, s[0:3], 0 offset:1196 ; 4-byte Folded Spill
	buffer_store_dword v20, off, s[0:3], 0 offset:1200 ; 4-byte Folded Spill
	buffer_store_dword v21, off, s[0:3], 0 offset:1204 ; 4-byte Folded Spill
	buffer_store_dword v22, off, s[0:3], 0 offset:1208 ; 4-byte Folded Spill
	buffer_store_dword v23, off, s[0:3], 0 offset:1212 ; 4-byte Folded Spill
	buffer_store_dword v24, off, s[0:3], 0 offset:1216 ; 4-byte Folded Spill
	buffer_store_dword v25, off, s[0:3], 0 offset:1220 ; 4-byte Folded Spill
	buffer_store_dword v26, off, s[0:3], 0 offset:1224 ; 4-byte Folded Spill
	buffer_store_dword v27, off, s[0:3], 0 offset:1228 ; 4-byte Folded Spill
	buffer_store_dword v28, off, s[0:3], 0 offset:1232 ; 4-byte Folded Spill
	buffer_store_dword v29, off, s[0:3], 0 offset:1236 ; 4-byte Folded Spill
	buffer_store_dword v30, off, s[0:3], 0 offset:1240 ; 4-byte Folded Spill
	buffer_store_dword v31, off, s[0:3], 0 offset:1244 ; 4-byte Folded Spill
	v_cndmask_b32_e64 v146, v56, v38, s[8:9]
	v_cndmask_b32_e64 v110, v57, v38, s[10:11]
	v_cndmask_b32_e32 v170, v66, v42, vcc
	v_cndmask_b32_e64 v184, v67, v42, s[8:9]
	v_cndmask_b32_e64 v226, v68, v42, s[10:11]
	;; [unrolled: 1-line block ×3, first 2 shown]
	v_cndmask_b32_e32 v15, v27, v37, vcc
	v_accvgpr_write_b32 a44, v18
	buffer_store_dword v0, off, s[0:3], 0 offset:1632 ; 4-byte Folded Spill
	s_nop 0
	buffer_store_dword v1, off, s[0:3], 0 offset:1636 ; 4-byte Folded Spill
	buffer_store_dword v2, off, s[0:3], 0 offset:1640 ; 4-byte Folded Spill
	;; [unrolled: 1-line block ×31, first 2 shown]
	v_cndmask_b32_e32 v14, v23, v36, vcc
	buffer_store_dword v0, off, s[0:3], 0 offset:1248 ; 4-byte Folded Spill
	s_nop 0
	buffer_store_dword v1, off, s[0:3], 0 offset:1252 ; 4-byte Folded Spill
	buffer_store_dword v2, off, s[0:3], 0 offset:1256 ; 4-byte Folded Spill
	buffer_store_dword v3, off, s[0:3], 0 offset:1260 ; 4-byte Folded Spill
	buffer_store_dword v4, off, s[0:3], 0 offset:1264 ; 4-byte Folded Spill
	buffer_store_dword v5, off, s[0:3], 0 offset:1268 ; 4-byte Folded Spill
	buffer_store_dword v6, off, s[0:3], 0 offset:1272 ; 4-byte Folded Spill
	buffer_store_dword v7, off, s[0:3], 0 offset:1276 ; 4-byte Folded Spill
	buffer_store_dword v8, off, s[0:3], 0 offset:1280 ; 4-byte Folded Spill
	buffer_store_dword v9, off, s[0:3], 0 offset:1284 ; 4-byte Folded Spill
	buffer_store_dword v10, off, s[0:3], 0 offset:1288 ; 4-byte Folded Spill
	buffer_store_dword v11, off, s[0:3], 0 offset:1292 ; 4-byte Folded Spill
	buffer_store_dword v12, off, s[0:3], 0 offset:1296 ; 4-byte Folded Spill
	buffer_store_dword v13, off, s[0:3], 0 offset:1300 ; 4-byte Folded Spill
	buffer_store_dword v14, off, s[0:3], 0 offset:1304 ; 4-byte Folded Spill
	buffer_store_dword v15, off, s[0:3], 0 offset:1308 ; 4-byte Folded Spill
	buffer_store_dword v16, off, s[0:3], 0 offset:1312 ; 4-byte Folded Spill
	buffer_store_dword v17, off, s[0:3], 0 offset:1316 ; 4-byte Folded Spill
	buffer_store_dword v18, off, s[0:3], 0 offset:1320 ; 4-byte Folded Spill
	buffer_store_dword v19, off, s[0:3], 0 offset:1324 ; 4-byte Folded Spill
	buffer_store_dword v20, off, s[0:3], 0 offset:1328 ; 4-byte Folded Spill
	buffer_store_dword v21, off, s[0:3], 0 offset:1332 ; 4-byte Folded Spill
	buffer_store_dword v22, off, s[0:3], 0 offset:1336 ; 4-byte Folded Spill
	buffer_store_dword v23, off, s[0:3], 0 offset:1340 ; 4-byte Folded Spill
	buffer_store_dword v24, off, s[0:3], 0 offset:1344 ; 4-byte Folded Spill
	buffer_store_dword v25, off, s[0:3], 0 offset:1348 ; 4-byte Folded Spill
	buffer_store_dword v26, off, s[0:3], 0 offset:1352 ; 4-byte Folded Spill
	buffer_store_dword v27, off, s[0:3], 0 offset:1356 ; 4-byte Folded Spill
	buffer_store_dword v28, off, s[0:3], 0 offset:1360 ; 4-byte Folded Spill
	buffer_store_dword v29, off, s[0:3], 0 offset:1364 ; 4-byte Folded Spill
	buffer_store_dword v30, off, s[0:3], 0 offset:1368 ; 4-byte Folded Spill
	buffer_store_dword v31, off, s[0:3], 0 offset:1372 ; 4-byte Folded Spill
	v_cndmask_b32_e64 v13, v26, v37, s[8:9]
	buffer_store_dword v0, off, s[0:3], 0 offset:1760 ; 4-byte Folded Spill
	s_nop 0
	buffer_store_dword v1, off, s[0:3], 0 offset:1764 ; 4-byte Folded Spill
	buffer_store_dword v2, off, s[0:3], 0 offset:1768 ; 4-byte Folded Spill
	buffer_store_dword v3, off, s[0:3], 0 offset:1772 ; 4-byte Folded Spill
	buffer_store_dword v4, off, s[0:3], 0 offset:1776 ; 4-byte Folded Spill
	buffer_store_dword v5, off, s[0:3], 0 offset:1780 ; 4-byte Folded Spill
	buffer_store_dword v6, off, s[0:3], 0 offset:1784 ; 4-byte Folded Spill
	buffer_store_dword v7, off, s[0:3], 0 offset:1788 ; 4-byte Folded Spill
	buffer_store_dword v8, off, s[0:3], 0 offset:1792 ; 4-byte Folded Spill
	buffer_store_dword v9, off, s[0:3], 0 offset:1796 ; 4-byte Folded Spill
	buffer_store_dword v10, off, s[0:3], 0 offset:1800 ; 4-byte Folded Spill
	buffer_store_dword v11, off, s[0:3], 0 offset:1804 ; 4-byte Folded Spill
	buffer_store_dword v12, off, s[0:3], 0 offset:1808 ; 4-byte Folded Spill
	buffer_store_dword v13, off, s[0:3], 0 offset:1812 ; 4-byte Folded Spill
	buffer_store_dword v14, off, s[0:3], 0 offset:1816 ; 4-byte Folded Spill
	buffer_store_dword v15, off, s[0:3], 0 offset:1820 ; 4-byte Folded Spill
	buffer_store_dword v16, off, s[0:3], 0 offset:1824 ; 4-byte Folded Spill
	buffer_store_dword v17, off, s[0:3], 0 offset:1828 ; 4-byte Folded Spill
	buffer_store_dword v18, off, s[0:3], 0 offset:1832 ; 4-byte Folded Spill
	buffer_store_dword v19, off, s[0:3], 0 offset:1836 ; 4-byte Folded Spill
	buffer_store_dword v20, off, s[0:3], 0 offset:1840 ; 4-byte Folded Spill
	buffer_store_dword v21, off, s[0:3], 0 offset:1844 ; 4-byte Folded Spill
	buffer_store_dword v22, off, s[0:3], 0 offset:1848 ; 4-byte Folded Spill
	buffer_store_dword v23, off, s[0:3], 0 offset:1852 ; 4-byte Folded Spill
	buffer_store_dword v24, off, s[0:3], 0 offset:1856 ; 4-byte Folded Spill
	buffer_store_dword v25, off, s[0:3], 0 offset:1860 ; 4-byte Folded Spill
	buffer_store_dword v26, off, s[0:3], 0 offset:1864 ; 4-byte Folded Spill
	buffer_store_dword v27, off, s[0:3], 0 offset:1868 ; 4-byte Folded Spill
	buffer_store_dword v28, off, s[0:3], 0 offset:1872 ; 4-byte Folded Spill
	buffer_store_dword v29, off, s[0:3], 0 offset:1876 ; 4-byte Folded Spill
	buffer_store_dword v30, off, s[0:3], 0 offset:1880 ; 4-byte Folded Spill
	buffer_store_dword v31, off, s[0:3], 0 offset:1884 ; 4-byte Folded Spill
	v_cndmask_b32_e64 v14, v22, v36, s[8:9]
	;; [unrolled: 34-line block ×3, first 2 shown]
	v_cndmask_b32_e64 v14, v21, v36, s[10:11]
	v_accvgpr_write_b32 a11, v13
	buffer_store_dword v4, off, s[0:3], 0 offset:1504 ; 4-byte Folded Spill
	s_nop 0
	buffer_store_dword v5, off, s[0:3], 0 offset:1508 ; 4-byte Folded Spill
	buffer_store_dword v6, off, s[0:3], 0 offset:1512 ; 4-byte Folded Spill
	;; [unrolled: 1-line block ×31, first 2 shown]
	v_cndmask_b32_e64 v17, v58, v39, s[12:13]
	buffer_store_dword v0, off, s[0:3], 0 offset:736 ; 4-byte Folded Spill
	s_nop 0
	buffer_store_dword v1, off, s[0:3], 0 offset:740 ; 4-byte Folded Spill
	buffer_store_dword v2, off, s[0:3], 0 offset:744 ; 4-byte Folded Spill
	;; [unrolled: 1-line block ×31, first 2 shown]
	v_cndmask_b32_e64 v18, v54, v38, s[12:13]
	buffer_store_dword v2, off, s[0:3], 0 offset:480 ; 4-byte Folded Spill
	s_nop 0
	buffer_store_dword v3, off, s[0:3], 0 offset:484 ; 4-byte Folded Spill
	buffer_store_dword v4, off, s[0:3], 0 offset:488 ; 4-byte Folded Spill
	;; [unrolled: 1-line block ×31, first 2 shown]
	v_cndmask_b32_e32 v15, v59, v39, vcc
	buffer_store_dword v0, off, s[0:3], 0 offset:992 ; 4-byte Folded Spill
	s_nop 0
	buffer_store_dword v1, off, s[0:3], 0 offset:996 ; 4-byte Folded Spill
	buffer_store_dword v2, off, s[0:3], 0 offset:1000 ; 4-byte Folded Spill
	;; [unrolled: 1-line block ×31, first 2 shown]
	v_cndmask_b32_e32 v14, v55, v38, vcc
	buffer_store_dword v0, off, s[0:3], 0 offset:864 ; 4-byte Folded Spill
	s_nop 0
	buffer_store_dword v1, off, s[0:3], 0 offset:868 ; 4-byte Folded Spill
	buffer_store_dword v2, off, s[0:3], 0 offset:872 ; 4-byte Folded Spill
	;; [unrolled: 1-line block ×31, first 2 shown]
	v_cndmask_b32_e64 v13, v60, v39, s[8:9]
	v_accvgpr_write_b32 a139, v13
	v_cndmask_b32_e64 v13, v61, v39, s[10:11]
	v_accvgpr_write_b32 a151, v13
	v_cndmask_b32_e64 v13, v71, v43, s[8:9]
	v_cndmask_b32_e64 v17, v69, v43, s[12:13]
	v_cndmask_b32_e32 v15, v70, v43, vcc
	v_accvgpr_write_b32 a185, v13
	v_cndmask_b32_e64 v13, v72, v43, s[10:11]
	v_accvgpr_write_b32 a61, v17
	v_accvgpr_write_b32 a77, v15
	;; [unrolled: 1-line block ×3, first 2 shown]
	v_cndmask_b32_e64 v16, v16, v42, s[12:13]
.LBB4_26:
	s_or_b64 exec, exec, s[56:57]
	s_mov_b64 s[8:9], 0
	buffer_store_dword v8, off, s[0:3], 0 offset:80
	s_and_saveexec_b64 s[20:21], s[4:5]
	s_cbranch_execz .LBB4_36
; %bb.27:
	s_mov_b64 s[22:23], 0
	v_cmp_gt_f64_e32 vcc, 0, v[2:3]
	s_branch .LBB4_29
.LBB4_28:                               ;   in Loop: Header=BB4_29 Depth=1
	s_or_b64 exec, exec, s[4:5]
	s_waitcnt vmcnt(0)
	v_cmp_gt_i32_e64 s[4:5], 0, v2
	s_or_b64 s[22:23], s[4:5], s[22:23]
	v_mov_b32_e32 v10, v2
	s_andn2_b64 exec, exec, s[22:23]
	s_cbranch_execz .LBB4_35
.LBB4_29:                               ; =>This Inner Loop Header: Depth=1
	buffer_load_dword a12, off, s[0:3], 0 offset:224 ; 4-byte Folded Reload
	buffer_load_dword a13, off, s[0:3], 0 offset:228 ; 4-byte Folded Reload
	buffer_load_dword a14, off, s[0:3], 0 offset:232 ; 4-byte Folded Reload
	buffer_load_dword a15, off, s[0:3], 0 offset:236 ; 4-byte Folded Reload
	buffer_load_dword a16, off, s[0:3], 0 offset:240 ; 4-byte Folded Reload
	buffer_load_dword a17, off, s[0:3], 0 offset:244 ; 4-byte Folded Reload
	buffer_load_dword a18, off, s[0:3], 0 offset:248 ; 4-byte Folded Reload
	buffer_load_dword a19, off, s[0:3], 0 offset:252 ; 4-byte Folded Reload
	buffer_load_dword a20, off, s[0:3], 0 offset:256 ; 4-byte Folded Reload
	buffer_load_dword a21, off, s[0:3], 0 offset:260 ; 4-byte Folded Reload
	buffer_load_dword a22, off, s[0:3], 0 offset:264 ; 4-byte Folded Reload
	buffer_load_dword a23, off, s[0:3], 0 offset:268 ; 4-byte Folded Reload
	buffer_load_dword a24, off, s[0:3], 0 offset:272 ; 4-byte Folded Reload
	buffer_load_dword a25, off, s[0:3], 0 offset:276 ; 4-byte Folded Reload
	buffer_load_dword a26, off, s[0:3], 0 offset:280 ; 4-byte Folded Reload
	buffer_load_dword a27, off, s[0:3], 0 offset:284 ; 4-byte Folded Reload
	buffer_load_dword a28, off, s[0:3], 0 offset:288 ; 4-byte Folded Reload
	buffer_load_dword a29, off, s[0:3], 0 offset:292 ; 4-byte Folded Reload
	buffer_load_dword a30, off, s[0:3], 0 offset:296 ; 4-byte Folded Reload
	buffer_load_dword a31, off, s[0:3], 0 offset:300 ; 4-byte Folded Reload
	buffer_load_dword a32, off, s[0:3], 0 offset:304 ; 4-byte Folded Reload
	buffer_load_dword a33, off, s[0:3], 0 offset:308 ; 4-byte Folded Reload
	buffer_load_dword a34, off, s[0:3], 0 offset:312 ; 4-byte Folded Reload
	buffer_load_dword a35, off, s[0:3], 0 offset:316 ; 4-byte Folded Reload
	buffer_load_dword a36, off, s[0:3], 0 offset:320 ; 4-byte Folded Reload
	buffer_load_dword a37, off, s[0:3], 0 offset:324 ; 4-byte Folded Reload
	buffer_load_dword a38, off, s[0:3], 0 offset:328 ; 4-byte Folded Reload
	buffer_load_dword a39, off, s[0:3], 0 offset:332 ; 4-byte Folded Reload
	buffer_load_dword a40, off, s[0:3], 0 offset:336 ; 4-byte Folded Reload
	buffer_load_dword a41, off, s[0:3], 0 offset:340 ; 4-byte Folded Reload
	buffer_load_dword a42, off, s[0:3], 0 offset:344 ; 4-byte Folded Reload
	buffer_load_dword a43, off, s[0:3], 0 offset:348 ; 4-byte Folded Reload
	v_cmp_eq_u32_e64 s[4:5], 1, v10
	v_cndmask_b32_e64 v2, v113, v109, s[4:5]
	v_cmp_eq_u32_e64 s[8:9], 2, v10
	v_cndmask_b32_e64 v2, v2, v107, s[8:9]
	v_cmp_eq_u32_e64 s[10:11], 3, v10
	v_cndmask_b32_e64 v3, v112, v108, s[4:5]
	v_cmp_eq_u32_e64 s[12:13], 4, v10
	v_cndmask_b32_e64 v3, v3, v106, s[8:9]
	v_cmp_eq_u32_e64 s[14:15], 5, v10
	v_accvgpr_read_b32 v13, a117
	v_cmp_eq_u32_e64 s[16:17], 6, v10
	v_cmp_eq_u32_e64 s[18:19], 7, v10
	;; [unrolled: 1-line block ×3, first 2 shown]
	s_mov_b64 s[8:9], 0
	s_waitcnt vmcnt(24)
	v_accvgpr_read_b32 v8, a18
	v_accvgpr_read_b32 v9, a19
	buffer_load_dword a12, off, s[0:3], 0 offset:96 ; 4-byte Folded Reload
	buffer_load_dword a13, off, s[0:3], 0 offset:100 ; 4-byte Folded Reload
	;; [unrolled: 1-line block ×64, first 2 shown]
	v_cndmask_b32_e64 v2, v2, v9, s[10:11]
	v_cndmask_b32_e64 v3, v3, v8, s[10:11]
	s_waitcnt vmcnt(54)
	v_accvgpr_read_b32 v14, a20
	v_accvgpr_read_b32 v15, a21
	v_cndmask_b32_e64 v2, v2, v15, s[12:13]
	v_cndmask_b32_e64 v2, v2, v13, s[14:15]
	v_accvgpr_read_b32 v13, a165
	v_cndmask_b32_e64 v3, v3, v14, s[12:13]
	v_accvgpr_read_b32 v14, a210
	;; [unrolled: 2-line block ×4, first 2 shown]
	v_cndmask_b32_e64 v2, v2, v15, s[18:19]
	v_cndmask_b32_e64 v3, v3, v14, s[16:17]
	v_accvgpr_read_b32 v14, a232
	v_cndmask_b32_e64 v4, v3, v14, s[18:19]
	s_waitcnt vmcnt(14)
	v_cndmask_b32_e64 v3, v2, v59, s[4:5]
	buffer_load_dword v42, off, s[0:3], 0 offset:1888 ; 4-byte Folded Reload
	buffer_load_dword v43, off, s[0:3], 0 offset:1892 ; 4-byte Folded Reload
	;; [unrolled: 1-line block ×32, first 2 shown]
	s_waitcnt vmcnt(15)
	v_cndmask_b32_e64 v2, v4, v58, s[4:5]
	v_lshl_add_u32 v4, v10, 2, v208
	v_cmp_ngt_f64_e64 s[4:5], 0, v[2:3]
	buffer_load_dword v2, v4, s[0:3], 0 offen
                                        ; implicit-def: $vgpr3
	s_and_saveexec_b64 s[10:11], s[4:5]
	s_xor_b64 s[10:11], exec, s[10:11]
	s_cbranch_execnz .LBB4_32
; %bb.30:                               ;   in Loop: Header=BB4_29 Depth=1
	s_andn2_saveexec_b64 s[4:5], s[10:11]
	s_cbranch_execnz .LBB4_33
.LBB4_31:                               ;   in Loop: Header=BB4_29 Depth=1
	s_or_b64 exec, exec, s[4:5]
	s_and_saveexec_b64 s[4:5], s[8:9]
	s_cbranch_execz .LBB4_28
	s_branch .LBB4_34
.LBB4_32:                               ;   in Loop: Header=BB4_29 Depth=1
	buffer_load_dword v3, off, s[0:3], 0 offset:80
                                        ; implicit-def: $vgpr4
	s_waitcnt vmcnt(0)
	v_cmp_eq_u32_e64 s[4:5], -1, v3
	v_mov_b32_e32 v3, 0x50
	s_and_b64 s[8:9], s[4:5], exec
	s_andn2_saveexec_b64 s[4:5], s[10:11]
	s_cbranch_execz .LBB4_31
.LBB4_33:                               ;   in Loop: Header=BB4_29 Depth=1
	buffer_load_dword v5, off, s[0:3], 0 offset:84
	v_mov_b32_e32 v3, 0x54
	s_or_b64 s[8:9], s[8:9], exec
	s_waitcnt vmcnt(0)
	buffer_store_dword v5, v4, s[0:3], 0 offen
	s_or_b64 exec, exec, s[4:5]
	s_and_saveexec_b64 s[4:5], s[8:9]
	s_cbranch_execz .LBB4_28
.LBB4_34:                               ;   in Loop: Header=BB4_29 Depth=1
	buffer_store_dword v10, v3, s[0:3], 0 offen
	s_branch .LBB4_28
.LBB4_35:
	s_or_b64 exec, exec, s[22:23]
	s_and_b64 s[8:9], vcc, exec
.LBB4_36:
	s_or_b64 exec, exec, s[20:21]
	s_and_saveexec_b64 s[4:5], s[6:7]
	s_cbranch_execz .LBB4_38
; %bb.37:
	v_mov_b32_e32 v2, 0
	v_cmp_gt_f64_e32 vcc, 0, v[0:1]
	v_lshl_add_u32 v3, v11, 2, v2
	s_or_b64 s[6:7], vcc, s[8:9]
	v_lshl_add_u32 v4, v7, 2, v2
	v_cndmask_b32_e64 v0, v12, -1, s[6:7]
	v_lshl_add_u32 v1, v20, 2, v2
	buffer_store_dword v7, v3, s[0:3], 0 offen offset:40
	buffer_store_dword v20, v4, s[0:3], 0 offen offset:40
	;; [unrolled: 1-line block ×3, first 2 shown]
.LBB4_38:
	s_or_b64 exec, exec, s[4:5]
	buffer_load_dword v10, off, s[0:3], 0 offset:80
	buffer_load_dword a12, off, s[0:3], 0 offset:352 ; 4-byte Folded Reload
	buffer_load_dword a13, off, s[0:3], 0 offset:356 ; 4-byte Folded Reload
	;; [unrolled: 1-line block ×64, first 2 shown]
	v_accvgpr_read_b32 v11, a11
	v_accvgpr_read_b32 v18, a44
	v_pk_mov_b32 v[4:5], -1, -1
	v_mov_b32_e32 v12, -1
	s_waitcnt vmcnt(62)
	v_cmp_eq_u32_e32 vcc, 1, v10
	v_cndmask_b32_e32 v0, v119, v117, vcc
	s_waitcnt vmcnt(22)
	v_pk_mov_b32 v[8:9], v[50:51], v[50:51] op_sel:[0,1]
	buffer_load_dword v42, off, s[0:3], 0 offset:1760 ; 4-byte Folded Reload
	buffer_load_dword v43, off, s[0:3], 0 offset:1764 ; 4-byte Folded Reload
	;; [unrolled: 1-line block ×32, first 2 shown]
	v_cmp_eq_u32_e64 s[4:5], 2, v10
	v_accvgpr_read_b32 v6, a18
	v_cndmask_b32_e64 v0, v0, v115, s[4:5]
	v_cmp_eq_u32_e64 s[6:7], 3, v10
	v_accvgpr_read_b32 v7, a19
	v_cndmask_b32_e32 v1, v118, v116, vcc
	v_cndmask_b32_e64 v0, v0, v7, s[6:7]
	v_cndmask_b32_e64 v1, v1, v114, s[4:5]
	v_cmp_eq_u32_e32 vcc, 4, v10
	v_cndmask_b32_e32 v0, v0, v9, vcc
	v_cndmask_b32_e64 v1, v1, v6, s[6:7]
	v_cmp_eq_u32_e64 s[4:5], 5, v10
	v_cndmask_b32_e64 v0, v0, v11, s[4:5]
	v_cndmask_b32_e32 v1, v1, v8, vcc
	v_cmp_eq_u32_e32 vcc, 6, v10
	v_mov_b32_e32 v11, -1
	v_pk_mov_b32 v[6:7], v[4:5], v[4:5] op_sel:[0,1]
	s_waitcnt vmcnt(18)
	v_cndmask_b32_e32 v0, v0, v55, vcc
	buffer_load_dword v42, off, s[0:3], 0 offset:1504 ; 4-byte Folded Reload
	buffer_load_dword v43, off, s[0:3], 0 offset:1508 ; 4-byte Folded Reload
	buffer_load_dword v44, off, s[0:3], 0 offset:1512 ; 4-byte Folded Reload
	buffer_load_dword v45, off, s[0:3], 0 offset:1516 ; 4-byte Folded Reload
	buffer_load_dword v46, off, s[0:3], 0 offset:1520 ; 4-byte Folded Reload
	buffer_load_dword v47, off, s[0:3], 0 offset:1524 ; 4-byte Folded Reload
	buffer_load_dword v48, off, s[0:3], 0 offset:1528 ; 4-byte Folded Reload
	buffer_load_dword v49, off, s[0:3], 0 offset:1532 ; 4-byte Folded Reload
	buffer_load_dword v50, off, s[0:3], 0 offset:1536 ; 4-byte Folded Reload
	buffer_load_dword v51, off, s[0:3], 0 offset:1540 ; 4-byte Folded Reload
	buffer_load_dword v52, off, s[0:3], 0 offset:1544 ; 4-byte Folded Reload
	buffer_load_dword v53, off, s[0:3], 0 offset:1548 ; 4-byte Folded Reload
	buffer_load_dword v54, off, s[0:3], 0 offset:1552 ; 4-byte Folded Reload
	buffer_load_dword v55, off, s[0:3], 0 offset:1556 ; 4-byte Folded Reload
	buffer_load_dword v56, off, s[0:3], 0 offset:1560 ; 4-byte Folded Reload
	buffer_load_dword v57, off, s[0:3], 0 offset:1564 ; 4-byte Folded Reload
	buffer_load_dword v58, off, s[0:3], 0 offset:1568 ; 4-byte Folded Reload
	buffer_load_dword v59, off, s[0:3], 0 offset:1572 ; 4-byte Folded Reload
	buffer_load_dword v60, off, s[0:3], 0 offset:1576 ; 4-byte Folded Reload
	buffer_load_dword v61, off, s[0:3], 0 offset:1580 ; 4-byte Folded Reload
	buffer_load_dword v62, off, s[0:3], 0 offset:1584 ; 4-byte Folded Reload
	buffer_load_dword v63, off, s[0:3], 0 offset:1588 ; 4-byte Folded Reload
	buffer_load_dword v64, off, s[0:3], 0 offset:1592 ; 4-byte Folded Reload
	buffer_load_dword v65, off, s[0:3], 0 offset:1596 ; 4-byte Folded Reload
	buffer_load_dword v66, off, s[0:3], 0 offset:1600 ; 4-byte Folded Reload
	buffer_load_dword v67, off, s[0:3], 0 offset:1604 ; 4-byte Folded Reload
	buffer_load_dword v68, off, s[0:3], 0 offset:1608 ; 4-byte Folded Reload
	buffer_load_dword v69, off, s[0:3], 0 offset:1612 ; 4-byte Folded Reload
	buffer_load_dword v70, off, s[0:3], 0 offset:1616 ; 4-byte Folded Reload
	buffer_load_dword v71, off, s[0:3], 0 offset:1620 ; 4-byte Folded Reload
	buffer_load_dword v72, off, s[0:3], 0 offset:1624 ; 4-byte Folded Reload
	buffer_load_dword v73, off, s[0:3], 0 offset:1628 ; 4-byte Folded Reload
	s_waitcnt vmcnt(21)
	v_cndmask_b32_e64 v1, v1, v52, s[4:5]
	buffer_load_dword v42, off, s[0:3], 0 offset:1632 ; 4-byte Folded Reload
	buffer_load_dword v43, off, s[0:3], 0 offset:1636 ; 4-byte Folded Reload
	;; [unrolled: 1-line block ×32, first 2 shown]
	v_cmp_eq_u32_e64 s[4:5], 7, v10
	s_waitcnt vmcnt(16)
	v_cndmask_b32_e64 v0, v0, v57, s[4:5]
	buffer_load_dword v42, off, s[0:3], 0 offset:1376 ; 4-byte Folded Reload
	buffer_load_dword v43, off, s[0:3], 0 offset:1380 ; 4-byte Folded Reload
	;; [unrolled: 1-line block ×32, first 2 shown]
	s_waitcnt vmcnt(19)
	v_cndmask_b32_e32 v1, v1, v54, vcc
	buffer_load_dword v42, off, s[0:3], 0 offset:1248 ; 4-byte Folded Reload
	buffer_load_dword v43, off, s[0:3], 0 offset:1252 ; 4-byte Folded Reload
	;; [unrolled: 1-line block ×32, first 2 shown]
	v_cmp_eq_u32_e32 vcc, 8, v10
	s_waitcnt vmcnt(17)
	v_cndmask_b32_e64 v2, v1, v56, s[4:5]
	buffer_load_dword v42, off, s[0:3], 0 offset:1120 ; 4-byte Folded Reload
	buffer_load_dword v43, off, s[0:3], 0 offset:1124 ; 4-byte Folded Reload
	;; [unrolled: 1-line block ×32, first 2 shown]
	v_cmp_lt_i32_e64 s[4:5], -1, v10
	s_waitcnt vmcnt(14)
	v_cndmask_b32_e32 v1, v0, v59, vcc
	v_cndmask_b32_e32 v0, v2, v18, vcc
	v_pk_mov_b32 v[2:3], 0, 0
	s_and_saveexec_b64 s[14:15], s[4:5]
	s_cbranch_execz .LBB4_42
; %bb.39:
	buffer_load_dword a12, off, s[0:3], 0 offset:352 ; 4-byte Folded Reload
	buffer_load_dword a13, off, s[0:3], 0 offset:356 ; 4-byte Folded Reload
	;; [unrolled: 1-line block ×64, first 2 shown]
	s_mov_b64 s[16:17], 0
	v_mov_b32_e32 v11, -1
	v_mov_b32_e32 v5, v10
	v_mov_b32_e32 v4, -1
	v_mov_b32_e32 v6, -1
	;; [unrolled: 1-line block ×3, first 2 shown]
	v_pk_mov_b32 v[8:9], v[0:1], v[0:1] op_sel:[0,1]
	v_accvgpr_read_b32 v25, a11
	v_accvgpr_read_b32 v20, a44
	s_waitcnt vmcnt(56)
	v_accvgpr_read_b32 v18, a18
	s_waitcnt vmcnt(14)
	v_mov_b32_e32 v17, v59
	buffer_load_dword v42, off, s[0:3], 0 offset:1632 ; 4-byte Folded Reload
	buffer_load_dword v43, off, s[0:3], 0 offset:1636 ; 4-byte Folded Reload
	;; [unrolled: 1-line block ×32, first 2 shown]
	v_accvgpr_read_b32 v19, a19
	s_waitcnt vmcnt(16)
	v_mov_b32_e32 v21, v57
	buffer_load_dword v42, off, s[0:3], 0 offset:1760 ; 4-byte Folded Reload
	buffer_load_dword v43, off, s[0:3], 0 offset:1764 ; 4-byte Folded Reload
	buffer_load_dword v44, off, s[0:3], 0 offset:1768 ; 4-byte Folded Reload
	buffer_load_dword v45, off, s[0:3], 0 offset:1772 ; 4-byte Folded Reload
	buffer_load_dword v46, off, s[0:3], 0 offset:1776 ; 4-byte Folded Reload
	buffer_load_dword v47, off, s[0:3], 0 offset:1780 ; 4-byte Folded Reload
	buffer_load_dword v48, off, s[0:3], 0 offset:1784 ; 4-byte Folded Reload
	buffer_load_dword v49, off, s[0:3], 0 offset:1788 ; 4-byte Folded Reload
	buffer_load_dword v50, off, s[0:3], 0 offset:1792 ; 4-byte Folded Reload
	buffer_load_dword v51, off, s[0:3], 0 offset:1796 ; 4-byte Folded Reload
	buffer_load_dword v52, off, s[0:3], 0 offset:1800 ; 4-byte Folded Reload
	buffer_load_dword v53, off, s[0:3], 0 offset:1804 ; 4-byte Folded Reload
	buffer_load_dword v54, off, s[0:3], 0 offset:1808 ; 4-byte Folded Reload
	buffer_load_dword v55, off, s[0:3], 0 offset:1812 ; 4-byte Folded Reload
	buffer_load_dword v56, off, s[0:3], 0 offset:1816 ; 4-byte Folded Reload
	buffer_load_dword v57, off, s[0:3], 0 offset:1820 ; 4-byte Folded Reload
	buffer_load_dword v58, off, s[0:3], 0 offset:1824 ; 4-byte Folded Reload
	buffer_load_dword v59, off, s[0:3], 0 offset:1828 ; 4-byte Folded Reload
	buffer_load_dword v60, off, s[0:3], 0 offset:1832 ; 4-byte Folded Reload
	buffer_load_dword v61, off, s[0:3], 0 offset:1836 ; 4-byte Folded Reload
	buffer_load_dword v62, off, s[0:3], 0 offset:1840 ; 4-byte Folded Reload
	buffer_load_dword v63, off, s[0:3], 0 offset:1844 ; 4-byte Folded Reload
	buffer_load_dword v64, off, s[0:3], 0 offset:1848 ; 4-byte Folded Reload
	buffer_load_dword v65, off, s[0:3], 0 offset:1852 ; 4-byte Folded Reload
	buffer_load_dword v66, off, s[0:3], 0 offset:1856 ; 4-byte Folded Reload
	buffer_load_dword v67, off, s[0:3], 0 offset:1860 ; 4-byte Folded Reload
	buffer_load_dword v68, off, s[0:3], 0 offset:1864 ; 4-byte Folded Reload
	buffer_load_dword v69, off, s[0:3], 0 offset:1868 ; 4-byte Folded Reload
	buffer_load_dword v70, off, s[0:3], 0 offset:1872 ; 4-byte Folded Reload
	buffer_load_dword v71, off, s[0:3], 0 offset:1876 ; 4-byte Folded Reload
	buffer_load_dword v72, off, s[0:3], 0 offset:1880 ; 4-byte Folded Reload
	buffer_load_dword v73, off, s[0:3], 0 offset:1884 ; 4-byte Folded Reload
	s_waitcnt vmcnt(18)
	v_mov_b32_e32 v23, v55
	buffer_load_dword v42, off, s[0:3], 0 offset:1248 ; 4-byte Folded Reload
	buffer_load_dword v43, off, s[0:3], 0 offset:1252 ; 4-byte Folded Reload
	buffer_load_dword v44, off, s[0:3], 0 offset:1256 ; 4-byte Folded Reload
	buffer_load_dword v45, off, s[0:3], 0 offset:1260 ; 4-byte Folded Reload
	buffer_load_dword v46, off, s[0:3], 0 offset:1264 ; 4-byte Folded Reload
	buffer_load_dword v47, off, s[0:3], 0 offset:1268 ; 4-byte Folded Reload
	buffer_load_dword v48, off, s[0:3], 0 offset:1272 ; 4-byte Folded Reload
	buffer_load_dword v49, off, s[0:3], 0 offset:1276 ; 4-byte Folded Reload
	buffer_load_dword v50, off, s[0:3], 0 offset:1280 ; 4-byte Folded Reload
	buffer_load_dword v51, off, s[0:3], 0 offset:1284 ; 4-byte Folded Reload
	buffer_load_dword v52, off, s[0:3], 0 offset:1288 ; 4-byte Folded Reload
	buffer_load_dword v53, off, s[0:3], 0 offset:1292 ; 4-byte Folded Reload
	buffer_load_dword v54, off, s[0:3], 0 offset:1296 ; 4-byte Folded Reload
	buffer_load_dword v55, off, s[0:3], 0 offset:1300 ; 4-byte Folded Reload
	buffer_load_dword v56, off, s[0:3], 0 offset:1304 ; 4-byte Folded Reload
	buffer_load_dword v57, off, s[0:3], 0 offset:1308 ; 4-byte Folded Reload
	buffer_load_dword v58, off, s[0:3], 0 offset:1312 ; 4-byte Folded Reload
	buffer_load_dword v59, off, s[0:3], 0 offset:1316 ; 4-byte Folded Reload
	buffer_load_dword v60, off, s[0:3], 0 offset:1320 ; 4-byte Folded Reload
	buffer_load_dword v61, off, s[0:3], 0 offset:1324 ; 4-byte Folded Reload
	buffer_load_dword v62, off, s[0:3], 0 offset:1328 ; 4-byte Folded Reload
	buffer_load_dword v63, off, s[0:3], 0 offset:1332 ; 4-byte Folded Reload
	buffer_load_dword v64, off, s[0:3], 0 offset:1336 ; 4-byte Folded Reload
	buffer_load_dword v65, off, s[0:3], 0 offset:1340 ; 4-byte Folded Reload
	buffer_load_dword v66, off, s[0:3], 0 offset:1344 ; 4-byte Folded Reload
	buffer_load_dword v67, off, s[0:3], 0 offset:1348 ; 4-byte Folded Reload
	buffer_load_dword v68, off, s[0:3], 0 offset:1352 ; 4-byte Folded Reload
	buffer_load_dword v69, off, s[0:3], 0 offset:1356 ; 4-byte Folded Reload
	buffer_load_dword v70, off, s[0:3], 0 offset:1360 ; 4-byte Folded Reload
	buffer_load_dword v71, off, s[0:3], 0 offset:1364 ; 4-byte Folded Reload
	buffer_load_dword v72, off, s[0:3], 0 offset:1368 ; 4-byte Folded Reload
	buffer_load_dword v73, off, s[0:3], 0 offset:1372 ; 4-byte Folded Reload
	;; [unrolled: 34-line block ×3, first 2 shown]
	s_waitcnt vmcnt(22)
	v_pk_mov_b32 v[26:27], v[50:51], v[50:51] op_sel:[0,1]
	buffer_load_dword v42, off, s[0:3], 0 offset:1504 ; 4-byte Folded Reload
	buffer_load_dword v43, off, s[0:3], 0 offset:1508 ; 4-byte Folded Reload
	;; [unrolled: 1-line block ×32, first 2 shown]
	s_waitcnt vmcnt(21)
	v_mov_b32_e32 v28, v52
	buffer_load_dword v42, off, s[0:3], 0 offset:1376 ; 4-byte Folded Reload
	buffer_load_dword v43, off, s[0:3], 0 offset:1380 ; 4-byte Folded Reload
	;; [unrolled: 1-line block ×32, first 2 shown]
	s_waitcnt vmcnt(19)
	v_mov_b32_e32 v24, v54
.LBB4_40:                               ; =>This Inner Loop Header: Depth=1
	v_lshl_add_u32 v2, v5, 2, v208
	buffer_load_dword v7, v2, s[0:3], 0 offen
	s_waitcnt vmcnt(0)
	v_cmp_gt_i32_e32 vcc, 0, v7
	v_cndmask_b32_e32 v13, v7, v10, vcc
	v_cmp_eq_u32_e64 s[6:7], 1, v13
	v_cndmask_b32_e64 v2, v119, v117, s[6:7]
	v_cmp_eq_u32_e64 s[8:9], 2, v13
	v_cndmask_b32_e64 v3, v118, v116, s[6:7]
	v_cndmask_b32_e64 v2, v2, v115, s[8:9]
	v_cmp_eq_u32_e64 s[10:11], 3, v13
	v_cndmask_b32_e64 v3, v3, v114, s[8:9]
	;; [unrolled: 3-line block ×6, first 2 shown]
	v_cndmask_b32_e64 v2, v2, v21, s[8:9]
	v_cndmask_b32_e64 v3, v3, v22, s[8:9]
	v_cmp_eq_u32_e64 s[6:7], 8, v13
	v_cndmask_b32_e64 v15, v2, v17, s[6:7]
	v_cndmask_b32_e64 v14, v3, v20, s[6:7]
	v_pk_mov_b32 v[2:3], v[8:9], v[8:9] op_sel:[0,1]
	v_cmp_le_f64_e64 s[6:7], 0, v[2:3]
	v_cmp_gt_f64_e64 s[8:9], 0, v[2:3]
	v_cmp_gt_f64_e64 s[10:11], 0, v[14:15]
	v_cmp_le_f64_e64 s[12:13], 0, v[14:15]
	s_and_b64 s[6:7], s[6:7], s[10:11]
	s_and_b64 s[8:9], s[8:9], s[12:13]
	v_cndmask_b32_e64 v6, v6, v13, s[6:7]
	v_cndmask_b32_e64 v12, v12, v13, s[8:9]
	;; [unrolled: 1-line block ×4, first 2 shown]
	s_or_b64 s[16:17], vcc, s[16:17]
	v_mov_b32_e32 v5, v7
	v_pk_mov_b32 v[8:9], v[14:15], v[14:15] op_sel:[0,1]
	s_andn2_b64 exec, exec, s[16:17]
	s_cbranch_execnz .LBB4_40
; %bb.41:
	s_or_b64 exec, exec, s[16:17]
.LBB4_42:
	s_or_b64 exec, exec, s[14:15]
	v_cmp_lt_i32_e64 s[6:7], -1, v11
	v_mov_b32_e32 v7, -1
	v_mov_b32_e32 v5, -1
	;; [unrolled: 1-line block ×3, first 2 shown]
	s_and_saveexec_b64 s[56:57], s[6:7]
	s_cbranch_execz .LBB4_44
; %bb.43:
	buffer_load_dword a12, off, s[0:3], 0 offset:352 ; 4-byte Folded Reload
	buffer_load_dword a13, off, s[0:3], 0 offset:356 ; 4-byte Folded Reload
	;; [unrolled: 1-line block ×64, first 2 shown]
	s_waitcnt vmcnt(18)
	v_accvgpr_read_b32 v55, a11
	v_cmp_eq_u32_e64 s[8:9], 1, v6
	v_cndmask_b32_e64 v5, v119, v117, s[8:9]
	v_cmp_eq_u32_e64 s[10:11], 2, v6
	v_cmp_eq_u32_e64 s[12:13], 3, v6
	;; [unrolled: 1-line block ×7, first 2 shown]
	v_cndmask_b32_e64 v6, v118, v116, s[8:9]
	v_cndmask_b32_e64 v5, v5, v115, s[10:11]
	;; [unrolled: 1-line block ×3, first 2 shown]
	v_accvgpr_read_b32 v42, a44
	v_cmp_eq_u32_e64 s[24:25], 1, v11
	v_cmp_eq_u32_e64 s[26:27], 2, v11
	v_cmp_eq_u32_e64 s[28:29], 3, v11
	v_cmp_eq_u32_e64 s[30:31], 4, v11
	v_cmp_eq_u32_e64 s[34:35], 5, v11
	v_cmp_eq_u32_e64 s[36:37], 6, v11
	v_cmp_eq_u32_e64 s[38:39], 7, v11
	v_cmp_eq_u32_e64 s[40:41], 8, v11
	v_accvgpr_read_b32 v47, a117
	v_accvgpr_read_b32 v45, a165
	;; [unrolled: 1-line block ×6, first 2 shown]
	s_waitcnt vmcnt(10)
	v_accvgpr_read_b32 v63, a151
	v_accvgpr_read_b32 v61, a139
	s_waitcnt vmcnt(0)
	v_accvgpr_read_b32 v73, a89
	v_accvgpr_read_b32 v71, a185
	;; [unrolled: 1-line block ×4, first 2 shown]
	buffer_load_dword a0, off, s[0:3], 0 offset:1760 ; 4-byte Folded Reload
	buffer_load_dword a1, off, s[0:3], 0 offset:1764 ; 4-byte Folded Reload
	;; [unrolled: 1-line block ×32, first 2 shown]
	v_cndmask_b32_e64 v5, v5, v39, s[12:13]
	v_cndmask_b32_e64 v6, v6, v38, s[12:13]
	;; [unrolled: 1-line block ×5, first 2 shown]
	s_waitcnt vmcnt(18)
	v_accvgpr_read_b32 v53, a13
	buffer_load_dword a0, off, s[0:3], 0 offset:1632 ; 4-byte Folded Reload
	buffer_load_dword a1, off, s[0:3], 0 offset:1636 ; 4-byte Folded Reload
	buffer_load_dword a2, off, s[0:3], 0 offset:1640 ; 4-byte Folded Reload
	buffer_load_dword a3, off, s[0:3], 0 offset:1644 ; 4-byte Folded Reload
	buffer_load_dword a4, off, s[0:3], 0 offset:1648 ; 4-byte Folded Reload
	buffer_load_dword a5, off, s[0:3], 0 offset:1652 ; 4-byte Folded Reload
	buffer_load_dword a6, off, s[0:3], 0 offset:1656 ; 4-byte Folded Reload
	buffer_load_dword a7, off, s[0:3], 0 offset:1660 ; 4-byte Folded Reload
	buffer_load_dword a8, off, s[0:3], 0 offset:1664 ; 4-byte Folded Reload
	buffer_load_dword a9, off, s[0:3], 0 offset:1668 ; 4-byte Folded Reload
	buffer_load_dword a10, off, s[0:3], 0 offset:1672 ; 4-byte Folded Reload
	buffer_load_dword a11, off, s[0:3], 0 offset:1676 ; 4-byte Folded Reload
	buffer_load_dword a12, off, s[0:3], 0 offset:1680 ; 4-byte Folded Reload
	buffer_load_dword a13, off, s[0:3], 0 offset:1684 ; 4-byte Folded Reload
	buffer_load_dword a14, off, s[0:3], 0 offset:1688 ; 4-byte Folded Reload
	buffer_load_dword a15, off, s[0:3], 0 offset:1692 ; 4-byte Folded Reload
	buffer_load_dword a16, off, s[0:3], 0 offset:1696 ; 4-byte Folded Reload
	buffer_load_dword a17, off, s[0:3], 0 offset:1700 ; 4-byte Folded Reload
	buffer_load_dword a18, off, s[0:3], 0 offset:1704 ; 4-byte Folded Reload
	buffer_load_dword a19, off, s[0:3], 0 offset:1708 ; 4-byte Folded Reload
	buffer_load_dword a20, off, s[0:3], 0 offset:1712 ; 4-byte Folded Reload
	buffer_load_dword a21, off, s[0:3], 0 offset:1716 ; 4-byte Folded Reload
	buffer_load_dword a22, off, s[0:3], 0 offset:1720 ; 4-byte Folded Reload
	buffer_load_dword a23, off, s[0:3], 0 offset:1724 ; 4-byte Folded Reload
	buffer_load_dword a24, off, s[0:3], 0 offset:1728 ; 4-byte Folded Reload
	buffer_load_dword a25, off, s[0:3], 0 offset:1732 ; 4-byte Folded Reload
	buffer_load_dword a26, off, s[0:3], 0 offset:1736 ; 4-byte Folded Reload
	buffer_load_dword a27, off, s[0:3], 0 offset:1740 ; 4-byte Folded Reload
	buffer_load_dword a28, off, s[0:3], 0 offset:1744 ; 4-byte Folded Reload
	buffer_load_dword a29, off, s[0:3], 0 offset:1748 ; 4-byte Folded Reload
	buffer_load_dword a30, off, s[0:3], 0 offset:1752 ; 4-byte Folded Reload
	buffer_load_dword a31, off, s[0:3], 0 offset:1756 ; 4-byte Folded Reload
	v_cndmask_b32_e64 v5, v5, v53, s[18:19]
	s_waitcnt vmcnt(16)
	v_accvgpr_read_b32 v49, a15
	buffer_load_dword a0, off, s[0:3], 0 offset:1504 ; 4-byte Folded Reload
	buffer_load_dword a1, off, s[0:3], 0 offset:1508 ; 4-byte Folded Reload
	buffer_load_dword a2, off, s[0:3], 0 offset:1512 ; 4-byte Folded Reload
	buffer_load_dword a3, off, s[0:3], 0 offset:1516 ; 4-byte Folded Reload
	buffer_load_dword a4, off, s[0:3], 0 offset:1520 ; 4-byte Folded Reload
	buffer_load_dword a5, off, s[0:3], 0 offset:1524 ; 4-byte Folded Reload
	buffer_load_dword a6, off, s[0:3], 0 offset:1528 ; 4-byte Folded Reload
	buffer_load_dword a7, off, s[0:3], 0 offset:1532 ; 4-byte Folded Reload
	buffer_load_dword a8, off, s[0:3], 0 offset:1536 ; 4-byte Folded Reload
	buffer_load_dword a9, off, s[0:3], 0 offset:1540 ; 4-byte Folded Reload
	buffer_load_dword a10, off, s[0:3], 0 offset:1544 ; 4-byte Folded Reload
	buffer_load_dword a11, off, s[0:3], 0 offset:1548 ; 4-byte Folded Reload
	buffer_load_dword a12, off, s[0:3], 0 offset:1552 ; 4-byte Folded Reload
	buffer_load_dword a13, off, s[0:3], 0 offset:1556 ; 4-byte Folded Reload
	buffer_load_dword a14, off, s[0:3], 0 offset:1560 ; 4-byte Folded Reload
	buffer_load_dword a15, off, s[0:3], 0 offset:1564 ; 4-byte Folded Reload
	buffer_load_dword a16, off, s[0:3], 0 offset:1568 ; 4-byte Folded Reload
	buffer_load_dword a17, off, s[0:3], 0 offset:1572 ; 4-byte Folded Reload
	buffer_load_dword a18, off, s[0:3], 0 offset:1576 ; 4-byte Folded Reload
	buffer_load_dword a19, off, s[0:3], 0 offset:1580 ; 4-byte Folded Reload
	buffer_load_dword a20, off, s[0:3], 0 offset:1584 ; 4-byte Folded Reload
	buffer_load_dword a21, off, s[0:3], 0 offset:1588 ; 4-byte Folded Reload
	buffer_load_dword a22, off, s[0:3], 0 offset:1592 ; 4-byte Folded Reload
	buffer_load_dword a23, off, s[0:3], 0 offset:1596 ; 4-byte Folded Reload
	buffer_load_dword a24, off, s[0:3], 0 offset:1600 ; 4-byte Folded Reload
	buffer_load_dword a25, off, s[0:3], 0 offset:1604 ; 4-byte Folded Reload
	buffer_load_dword a26, off, s[0:3], 0 offset:1608 ; 4-byte Folded Reload
	buffer_load_dword a27, off, s[0:3], 0 offset:1612 ; 4-byte Folded Reload
	buffer_load_dword a28, off, s[0:3], 0 offset:1616 ; 4-byte Folded Reload
	buffer_load_dword a29, off, s[0:3], 0 offset:1620 ; 4-byte Folded Reload
	buffer_load_dword a30, off, s[0:3], 0 offset:1624 ; 4-byte Folded Reload
	buffer_load_dword a31, off, s[0:3], 0 offset:1628 ; 4-byte Folded Reload
	v_cndmask_b32_e64 v5, v5, v49, s[20:21]
	;; [unrolled: 35-line block ×5, first 2 shown]
	v_cndmask_b32_e64 v20, v6, v42, s[22:23]
	v_cndmask_b32_e64 v6, v118, v116, s[24:25]
	;; [unrolled: 1-line block ×11, first 2 shown]
	s_waitcnt vmcnt(14)
	v_accvgpr_read_b32 v43, a17
	buffer_load_dword a0, off, s[0:3], 0 offset:224 ; 4-byte Folded Reload
	buffer_load_dword a1, off, s[0:3], 0 offset:228 ; 4-byte Folded Reload
	;; [unrolled: 1-line block ×32, first 2 shown]
	v_cndmask_b32_e64 v21, v5, v43, s[22:23]
	v_cndmask_b32_e64 v5, v119, v117, s[24:25]
	;; [unrolled: 1-line block ×9, first 2 shown]
	v_add_f64 v[8:9], -v[20:21], 0
	v_add_f64 v[14:15], v[22:23], -v[20:21]
	v_div_scale_f64 v[18:19], s[42:43], v[14:15], v[14:15], v[8:9]
	v_rcp_f64_e32 v[24:25], v[18:19]
	v_cndmask_b32_e64 v5, v113, v109, s[24:25]
	v_cndmask_b32_e64 v5, v5, v107, s[26:27]
	v_fma_f64 v[26:27], -v[18:19], v[24:25], 1.0
	v_fmac_f64_e32 v[24:25], v[24:25], v[26:27]
	v_fma_f64 v[26:27], -v[18:19], v[24:25], 1.0
	v_fmac_f64_e32 v[24:25], v[24:25], v[26:27]
	v_div_scale_f64 v[26:27], vcc, v[8:9], v[14:15], v[8:9]
	v_mul_f64 v[28:29], v[26:27], v[24:25]
	v_fma_f64 v[18:19], -v[18:19], v[28:29], v[26:27]
	s_nop 1
	v_div_fmas_f64 v[18:19], v[18:19], v[24:25], v[28:29]
	v_div_fixup_f64 v[28:29], v[18:19], v[14:15], v[8:9]
	v_add_f64 v[30:31], -v[28:29], 1.0
	s_waitcnt vmcnt(24)
	v_accvgpr_read_b32 v25, a7
	v_accvgpr_read_b32 v24, a6
	buffer_load_dword a0, off, s[0:3], 0 offset:96 ; 4-byte Folded Reload
	buffer_load_dword a1, off, s[0:3], 0 offset:100 ; 4-byte Folded Reload
	;; [unrolled: 1-line block ×32, first 2 shown]
	v_cndmask_b32_e64 v5, v5, v25, s[28:29]
	v_cndmask_b32_e64 v6, v6, v24, s[28:29]
	s_waitcnt vmcnt(22)
	v_accvgpr_read_b32 v27, a9
	v_accvgpr_read_b32 v26, a8
	buffer_load_dword a0, off, s[0:3], 0 offset:2016 ; 4-byte Folded Reload
	buffer_load_dword a1, off, s[0:3], 0 offset:2020 ; 4-byte Folded Reload
	;; [unrolled: 1-line block ×32, first 2 shown]
	v_cndmask_b32_e64 v5, v5, v27, s[30:31]
	v_cndmask_b32_e64 v5, v5, v47, s[34:35]
	;; [unrolled: 1-line block ×8, first 2 shown]
	s_waitcnt vmcnt(14)
	v_accvgpr_read_b32 v17, a17
	buffer_load_dword a0, off, s[0:3], 0 offset:1888 ; 4-byte Folded Reload
	buffer_load_dword a1, off, s[0:3], 0 offset:1892 ; 4-byte Folded Reload
	buffer_load_dword a2, off, s[0:3], 0 offset:1896 ; 4-byte Folded Reload
	buffer_load_dword a3, off, s[0:3], 0 offset:1900 ; 4-byte Folded Reload
	buffer_load_dword a4, off, s[0:3], 0 offset:1904 ; 4-byte Folded Reload
	buffer_load_dword a5, off, s[0:3], 0 offset:1908 ; 4-byte Folded Reload
	buffer_load_dword a6, off, s[0:3], 0 offset:1912 ; 4-byte Folded Reload
	buffer_load_dword a7, off, s[0:3], 0 offset:1916 ; 4-byte Folded Reload
	buffer_load_dword a8, off, s[0:3], 0 offset:1920 ; 4-byte Folded Reload
	buffer_load_dword a9, off, s[0:3], 0 offset:1924 ; 4-byte Folded Reload
	buffer_load_dword a10, off, s[0:3], 0 offset:1928 ; 4-byte Folded Reload
	buffer_load_dword a11, off, s[0:3], 0 offset:1932 ; 4-byte Folded Reload
	buffer_load_dword a12, off, s[0:3], 0 offset:1936 ; 4-byte Folded Reload
	buffer_load_dword a13, off, s[0:3], 0 offset:1940 ; 4-byte Folded Reload
	buffer_load_dword a14, off, s[0:3], 0 offset:1944 ; 4-byte Folded Reload
	buffer_load_dword a15, off, s[0:3], 0 offset:1948 ; 4-byte Folded Reload
	buffer_load_dword a16, off, s[0:3], 0 offset:1952 ; 4-byte Folded Reload
	buffer_load_dword a17, off, s[0:3], 0 offset:1956 ; 4-byte Folded Reload
	buffer_load_dword a18, off, s[0:3], 0 offset:1960 ; 4-byte Folded Reload
	buffer_load_dword a19, off, s[0:3], 0 offset:1964 ; 4-byte Folded Reload
	buffer_load_dword a20, off, s[0:3], 0 offset:1968 ; 4-byte Folded Reload
	buffer_load_dword a21, off, s[0:3], 0 offset:1972 ; 4-byte Folded Reload
	buffer_load_dword a22, off, s[0:3], 0 offset:1976 ; 4-byte Folded Reload
	buffer_load_dword a23, off, s[0:3], 0 offset:1980 ; 4-byte Folded Reload
	buffer_load_dword a24, off, s[0:3], 0 offset:1984 ; 4-byte Folded Reload
	buffer_load_dword a25, off, s[0:3], 0 offset:1988 ; 4-byte Folded Reload
	buffer_load_dword a26, off, s[0:3], 0 offset:1992 ; 4-byte Folded Reload
	buffer_load_dword a27, off, s[0:3], 0 offset:1996 ; 4-byte Folded Reload
	buffer_load_dword a28, off, s[0:3], 0 offset:2000 ; 4-byte Folded Reload
	buffer_load_dword a29, off, s[0:3], 0 offset:2004 ; 4-byte Folded Reload
	buffer_load_dword a30, off, s[0:3], 0 offset:2008 ; 4-byte Folded Reload
	buffer_load_dword a31, off, s[0:3], 0 offset:2012 ; 4-byte Folded Reload
	v_cndmask_b32_e64 v9, v5, v17, s[40:41]
	v_cndmask_b32_e64 v5, v113, v109, s[8:9]
	;; [unrolled: 1-line block ×9, first 2 shown]
	buffer_load_dword v5, off, s[0:3], 0 offset:84
	s_waitcnt vmcnt(16)
	v_accvgpr_read_b32 v18, a16
	buffer_load_dword a0, off, s[0:3], 0 offset:992 ; 4-byte Folded Reload
	buffer_load_dword a1, off, s[0:3], 0 offset:996 ; 4-byte Folded Reload
	;; [unrolled: 1-line block ×32, first 2 shown]
	v_cndmask_b32_e64 v8, v6, v18, s[40:41]
	v_cndmask_b32_e64 v6, v112, v108, s[8:9]
	;; [unrolled: 1-line block ×9, first 2 shown]
	v_mul_f64 v[34:35], v[14:15], v[30:31]
	v_fmac_f64_e32 v[34:35], v[8:9], v[28:29]
	s_waitcnt vmcnt(32)
	v_cmp_eq_u32_e64 s[44:45], 8, v5
	v_cmp_eq_u32_e64 s[46:47], 7, v5
	v_cndmask_b32_e64 v6, v18, v34, s[44:45]
	v_cndmask_b32_e64 v9, v36, v34, s[46:47]
	;; [unrolled: 1-line block ×3, first 2 shown]
	v_mul_f64 v[36:37], v[20:21], v[30:31]
	v_cmp_eq_u32_e64 s[48:49], 6, v5
	v_cmp_eq_u32_e32 vcc, 4, v5
	v_fmac_f64_e32 v[36:37], v[22:23], v[28:29]
	v_cndmask_b32_e64 v13, v44, v34, s[48:49]
	v_cndmask_b32_e32 v44, v26, v34, vcc
	v_cndmask_b32_e64 v26, v49, v37, s[46:47]
	v_cndmask_b32_e32 v49, v51, v37, vcc
	v_cndmask_b32_e64 v8, v253, v249, s[24:25]
	v_cndmask_b32_e64 v8, v8, v255, s[26:27]
	;; [unrolled: 1-line block ×6, first 2 shown]
	v_cmp_eq_u32_e64 s[50:51], 5, v5
	v_cmp_eq_u32_e64 s[42:43], 3, v5
	v_cndmask_b32_e64 v15, v47, v35, s[50:51]
	v_cndmask_b32_e64 v47, v25, v35, s[42:43]
	;; [unrolled: 1-line block ×19, first 2 shown]
	v_cndmask_b32_e32 v48, v50, v36, vcc
	v_cndmask_b32_e64 v38, v38, v146, s[36:37]
	v_cndmask_b32_e64 v19, v17, v35, s[44:45]
	;; [unrolled: 1-line block ×3, first 2 shown]
	v_cndmask_b32_e32 v45, v27, v35, vcc
	v_cndmask_b32_e64 v27, v43, v37, s[44:45]
	v_cndmask_b32_e64 v14, v46, v34, s[50:51]
	;; [unrolled: 1-line block ×5, first 2 shown]
	s_waitcnt vmcnt(16)
	v_accvgpr_read_b32 v59, a15
	buffer_load_dword a0, off, s[0:3], 0 offset:864 ; 4-byte Folded Reload
	buffer_load_dword a1, off, s[0:3], 0 offset:868 ; 4-byte Folded Reload
	;; [unrolled: 1-line block ×32, first 2 shown]
	v_cndmask_b32_e64 v8, v8, v59, s[38:39]
	s_waitcnt vmcnt(17)
	v_accvgpr_read_b32 v56, a14
	buffer_load_dword a0, off, s[0:3], 0 offset:736 ; 4-byte Folded Reload
	buffer_load_dword a1, off, s[0:3], 0 offset:740 ; 4-byte Folded Reload
	;; [unrolled: 1-line block ×32, first 2 shown]
	v_cndmask_b32_e64 v42, v42, v56, s[20:21]
	v_cndmask_b32_e64 v38, v38, v56, s[38:39]
	s_waitcnt vmcnt(14)
	v_accvgpr_read_b32 v51, a17
	buffer_load_dword a0, off, s[0:3], 0 offset:480 ; 4-byte Folded Reload
	buffer_load_dword a1, off, s[0:3], 0 offset:484 ; 4-byte Folded Reload
	;; [unrolled: 1-line block ×32, first 2 shown]
	v_cndmask_b32_e64 v39, v8, v51, s[40:41]
	v_cndmask_b32_e64 v8, v253, v249, s[8:9]
	;; [unrolled: 1-line block ×15, first 2 shown]
	s_waitcnt vmcnt(15)
	v_accvgpr_read_b32 v50, a16
	v_cndmask_b32_e64 v42, v42, v50, s[22:23]
	v_cndmask_b32_e64 v38, v38, v50, s[40:41]
	v_mul_f64 v[42:43], v[42:43], v[30:31]
	v_fmac_f64_e32 v[42:43], v[38:39], v[28:29]
	v_cndmask_b32_e64 v38, v32, v250, s[8:9]
	v_cndmask_b32_e64 v38, v38, v204, s[10:11]
	;; [unrolled: 1-line block ×6, first 2 shown]
	v_accvgpr_read_b32 v51, a77
	v_cndmask_b32_e64 v38, v38, v184, s[18:19]
	v_cndmask_b32_e64 v65, v41, v43, s[42:43]
	;; [unrolled: 1-line block ×4, first 2 shown]
	v_accvgpr_read_b32 v41, a61
	v_cndmask_b32_e64 v39, v8, v41, s[22:23]
	v_cndmask_b32_e64 v38, v38, v16, s[22:23]
	v_mul_f64 v[30:31], v[38:39], v[30:31]
	v_cndmask_b32_e64 v8, v33, v251, s[24:25]
	v_cndmask_b32_e64 v38, v32, v250, s[24:25]
	;; [unrolled: 1-line block ×16, first 2 shown]
	v_fmac_f64_e32 v[30:31], v[38:39], v[28:29]
	v_mov_b32_e32 v28, 0
	v_lshl_add_u32 v8, v5, 2, v28
	buffer_load_dword v8, v8, s[0:3], 0 offen offset:40
	v_cndmask_b32_e64 v72, v73, v31, s[50:51]
	v_cndmask_b32_e64 v54, v50, v42, s[44:45]
	;; [unrolled: 1-line block ×8, first 2 shown]
	v_cmp_eq_u32_e64 s[8:9], 2, v5
	v_cmp_eq_u32_e64 s[44:45], 1, v5
	;; [unrolled: 1-line block ×3, first 2 shown]
	v_cndmask_b32_e64 v60, v61, v43, s[48:49]
	v_cndmask_b32_e64 v61, v63, v43, s[50:51]
	v_cndmask_b32_e32 v63, v75, v43, vcc
	v_cndmask_b32_e64 v50, v106, v34, s[8:9]
	v_cndmask_b32_e64 v75, v107, v35, s[8:9]
	;; [unrolled: 1-line block ×12, first 2 shown]
	v_cmp_eq_u32_e64 s[8:9], 1, v4
	v_cmp_eq_u32_e64 s[10:11], 2, v4
	;; [unrolled: 1-line block ×8, first 2 shown]
	v_cndmask_b32_e64 v4, v80, v79, s[8:9]
	v_cndmask_b32_e64 v4, v4, v78, s[10:11]
	;; [unrolled: 1-line block ×7, first 2 shown]
	v_cmp_eq_u32_e64 s[24:25], 1, v12
	v_cmp_eq_u32_e64 s[26:27], 2, v12
	;; [unrolled: 1-line block ×8, first 2 shown]
	v_cndmask_b32_e32 v62, v74, v42, vcc
	v_cndmask_b32_e64 v51, v108, v34, s[44:45]
	v_cndmask_b32_e64 v74, v112, v34, s[46:47]
	;; [unrolled: 1-line block ×16, first 2 shown]
	v_cndmask_b32_e32 v90, v132, v30, vcc
	v_cndmask_b32_e64 v93, v250, v30, s[44:45]
	v_cndmask_b32_e64 v94, v32, v30, s[46:47]
	v_cndmask_b32_e32 v95, v133, v31, vcc
	v_cndmask_b32_e64 v100, v33, v31, s[46:47]
	s_waitcnt vmcnt(0)
	v_lshl_add_u32 v28, v8, 2, v28
	buffer_load_dword v73, v28, s[0:3], 0 offen offset:40
	v_cndmask_b32_e64 v28, v83, v82, s[8:9]
	v_cndmask_b32_e64 v28, v28, v81, s[10:11]
	;; [unrolled: 1-line block ×25, first 2 shown]
	v_add_f64 v[34:35], -v[28:29], 0
	v_add_f64 v[38:39], v[36:37], -v[28:29]
	v_div_scale_f64 v[40:41], s[42:43], v[38:39], v[38:39], v[34:35]
	v_rcp_f64_e32 v[42:43], v[40:41]
	v_cndmask_b32_e64 v4, v251, v31, s[44:45]
	v_cmp_eq_u32_e64 s[42:43], 3, v8
	v_cmp_eq_u32_e64 s[44:45], 2, v8
	v_fma_f64 v[30:31], -v[40:41], v[42:43], 1.0
	v_fmac_f64_e32 v[42:43], v[42:43], v[30:31]
	v_fma_f64 v[30:31], -v[40:41], v[42:43], 1.0
	v_fmac_f64_e32 v[42:43], v[42:43], v[30:31]
	v_div_scale_f64 v[30:31], vcc, v[34:35], v[38:39], v[34:35]
	v_mul_f64 v[32:33], v[30:31], v[42:43]
	v_fma_f64 v[30:31], -v[40:41], v[32:33], v[30:31]
	v_cmp_eq_u32_e64 s[46:47], 1, v8
	s_nop 0
	v_div_fmas_f64 v[30:31], v[30:31], v[42:43], v[32:33]
	v_div_fixup_f64 v[30:31], v[30:31], v[38:39], v[34:35]
	v_cndmask_b32_e64 v34, v77, v76, s[8:9]
	v_cndmask_b32_e64 v32, v77, v76, s[24:25]
	;; [unrolled: 1-line block ×31, first 2 shown]
	v_add_f64 v[38:39], -v[30:31], 1.0
	v_cndmask_b32_e64 v32, v32, v6, s[40:41]
	v_mul_f64 v[34:35], v[34:35], v[38:39]
	v_fmac_f64_e32 v[34:35], v[32:33], v[30:31]
	v_cmp_eq_u32_e32 vcc, 4, v8
	v_cndmask_b32_e32 v33, v45, v35, vcc
	v_cndmask_b32_e32 v32, v44, v34, vcc
	s_waitcnt vmcnt(0)
	buffer_store_dword v73, off, s[0:3], 0 offset:84
	buffer_store_dword v24, off, s[0:3], 0 offset:96 ; 4-byte Folded Spill
	s_nop 0
	buffer_store_dword v25, off, s[0:3], 0 offset:100 ; 4-byte Folded Spill
	buffer_store_dword v26, off, s[0:3], 0 offset:104 ; 4-byte Folded Spill
	;; [unrolled: 1-line block ×31, first 2 shown]
	v_cmp_eq_u32_e64 s[48:49], 0, v8
	v_cndmask_b32_e64 v33, v47, v35, s[42:43]
	v_cndmask_b32_e64 v32, v46, v34, s[42:43]
	buffer_store_dword v26, off, s[0:3], 0 offset:224 ; 4-byte Folded Spill
	s_nop 0
	buffer_store_dword v27, off, s[0:3], 0 offset:228 ; 4-byte Folded Spill
	buffer_store_dword v28, off, s[0:3], 0 offset:232 ; 4-byte Folded Spill
	;; [unrolled: 1-line block ×31, first 2 shown]
	v_cndmask_b32_e64 v32, v89, v88, s[24:25]
	v_cndmask_b32_e64 v32, v32, v87, s[26:27]
	;; [unrolled: 1-line block ×28, first 2 shown]
	v_mul_f64 v[28:29], v[28:29], v[38:39]
	v_fmac_f64_e32 v[28:29], v[36:37], v[30:31]
	v_cndmask_b32_e64 v36, v89, v88, s[8:9]
	v_cndmask_b32_e64 v36, v36, v87, s[10:11]
	;; [unrolled: 1-line block ×20, first 2 shown]
	v_mul_f64 v[36:37], v[36:37], v[38:39]
	v_fmac_f64_e32 v[36:37], v[32:33], v[30:31]
	v_cndmask_b32_e64 v32, v100, v4, s[24:25]
	v_cndmask_b32_e64 v32, v32, v97, s[26:27]
	;; [unrolled: 1-line block ×16, first 2 shown]
	v_mul_f64 v[38:39], v[40:41], v[38:39]
	v_fmac_f64_e32 v[38:39], v[32:33], v[30:31]
	v_cndmask_b32_e32 v31, v49, v29, vcc
	v_cndmask_b32_e32 v30, v48, v28, vcc
	v_cndmask_b32_e64 v107, v75, v35, s[44:45]
	v_cndmask_b32_e64 v106, v50, v34, s[44:45]
	;; [unrolled: 1-line block ×6, first 2 shown]
	buffer_store_dword v22, off, s[0:3], 0 offset:608 ; 4-byte Folded Spill
	s_nop 0
	buffer_store_dword v23, off, s[0:3], 0 offset:612 ; 4-byte Folded Spill
	buffer_store_dword v24, off, s[0:3], 0 offset:616 ; 4-byte Folded Spill
	;; [unrolled: 1-line block ×31, first 2 shown]
	v_cmp_eq_u32_e64 s[12:13], 8, v8
	v_cmp_eq_u32_e64 s[8:9], 6, v8
	;; [unrolled: 1-line block ×3, first 2 shown]
	v_cndmask_b32_e64 v31, v53, v29, s[42:43]
	v_cndmask_b32_e64 v30, v52, v28, s[42:43]
	buffer_store_dword v24, off, s[0:3], 0 offset:352 ; 4-byte Folded Spill
	s_nop 0
	buffer_store_dword v25, off, s[0:3], 0 offset:356 ; 4-byte Folded Spill
	buffer_store_dword v26, off, s[0:3], 0 offset:360 ; 4-byte Folded Spill
	;; [unrolled: 1-line block ×31, first 2 shown]
	v_cndmask_b32_e64 v33, v100, v39, s[48:49]
	v_cndmask_b32_e64 v32, v94, v38, s[48:49]
	;; [unrolled: 1-line block ×9, first 2 shown]
	v_cndmask_b32_e32 v75, v63, v37, vcc
	v_cndmask_b32_e32 v74, v62, v36, vcc
	;; [unrolled: 1-line block ×4, first 2 shown]
	v_cndmask_b32_e64 v251, v4, v39, s[46:47]
	v_cmp_eq_u32_e32 vcc, 7, v8
	buffer_store_dword v2, off, s[0:3], 0 offset:2016 ; 4-byte Folded Spill
	s_nop 0
	buffer_store_dword v3, off, s[0:3], 0 offset:2020 ; 4-byte Folded Spill
	buffer_store_dword v4, off, s[0:3], 0 offset:2024 ; 4-byte Folded Spill
	buffer_store_dword v5, off, s[0:3], 0 offset:2028 ; 4-byte Folded Spill
	buffer_store_dword v6, off, s[0:3], 0 offset:2032 ; 4-byte Folded Spill
	buffer_store_dword v7, off, s[0:3], 0 offset:2036 ; 4-byte Folded Spill
	buffer_store_dword v8, off, s[0:3], 0 offset:2040 ; 4-byte Folded Spill
	buffer_store_dword v9, off, s[0:3], 0 offset:2044 ; 4-byte Folded Spill
	buffer_store_dword v10, off, s[0:3], 0 offset:2048 ; 4-byte Folded Spill
	buffer_store_dword v11, off, s[0:3], 0 offset:2052 ; 4-byte Folded Spill
	buffer_store_dword v12, off, s[0:3], 0 offset:2056 ; 4-byte Folded Spill
	buffer_store_dword v13, off, s[0:3], 0 offset:2060 ; 4-byte Folded Spill
	buffer_store_dword v14, off, s[0:3], 0 offset:2064 ; 4-byte Folded Spill
	buffer_store_dword v15, off, s[0:3], 0 offset:2068 ; 4-byte Folded Spill
	buffer_store_dword v16, off, s[0:3], 0 offset:2072 ; 4-byte Folded Spill
	buffer_store_dword v17, off, s[0:3], 0 offset:2076 ; 4-byte Folded Spill
	buffer_store_dword v18, off, s[0:3], 0 offset:2080 ; 4-byte Folded Spill
	buffer_store_dword v19, off, s[0:3], 0 offset:2084 ; 4-byte Folded Spill
	buffer_store_dword v20, off, s[0:3], 0 offset:2088 ; 4-byte Folded Spill
	buffer_store_dword v21, off, s[0:3], 0 offset:2092 ; 4-byte Folded Spill
	buffer_store_dword v22, off, s[0:3], 0 offset:2096 ; 4-byte Folded Spill
	buffer_store_dword v23, off, s[0:3], 0 offset:2100 ; 4-byte Folded Spill
	buffer_store_dword v24, off, s[0:3], 0 offset:2104 ; 4-byte Folded Spill
	buffer_store_dword v25, off, s[0:3], 0 offset:2108 ; 4-byte Folded Spill
	buffer_store_dword v26, off, s[0:3], 0 offset:2112 ; 4-byte Folded Spill
	buffer_store_dword v27, off, s[0:3], 0 offset:2116 ; 4-byte Folded Spill
	buffer_store_dword v28, off, s[0:3], 0 offset:2120 ; 4-byte Folded Spill
	buffer_store_dword v29, off, s[0:3], 0 offset:2124 ; 4-byte Folded Spill
	buffer_store_dword v30, off, s[0:3], 0 offset:2128 ; 4-byte Folded Spill
	buffer_store_dword v31, off, s[0:3], 0 offset:2132 ; 4-byte Folded Spill
	buffer_store_dword v32, off, s[0:3], 0 offset:2136 ; 4-byte Folded Spill
	buffer_store_dword v33, off, s[0:3], 0 offset:2140 ; 4-byte Folded Spill
	v_cndmask_b32_e64 v41, v65, v37, s[42:43]
	v_cndmask_b32_e64 v40, v64, v36, s[42:43]
	;; [unrolled: 1-line block ×14, first 2 shown]
	buffer_store_dword v14, off, s[0:3], 0 offset:1888 ; 4-byte Folded Spill
	s_nop 0
	buffer_store_dword v15, off, s[0:3], 0 offset:1892 ; 4-byte Folded Spill
	buffer_store_dword v16, off, s[0:3], 0 offset:1896 ; 4-byte Folded Spill
	;; [unrolled: 1-line block ×31, first 2 shown]
	v_cndmask_b32_e32 v19, v18, v35, vcc
	v_cndmask_b32_e32 v18, v9, v34, vcc
	v_cndmask_b32_e64 v17, v17, v35, s[8:9]
	v_accvgpr_write_b32 a232, v18
	v_accvgpr_write_b32 a165, v17
	v_cndmask_b32_e64 v18, v13, v34, s[8:9]
	v_cndmask_b32_e64 v13, v15, v35, s[10:11]
	v_cndmask_b32_e64 v14, v14, v34, s[10:11]
	v_cndmask_b32_e64 v17, v27, v29, s[12:13]
	v_accvgpr_write_b32 a105, v19
	v_accvgpr_write_b32 a198, v18
	;; [unrolled: 1-line block ×4, first 2 shown]
	buffer_store_dword v0, off, s[0:3], 0 offset:1120 ; 4-byte Folded Spill
	s_nop 0
	buffer_store_dword v1, off, s[0:3], 0 offset:1124 ; 4-byte Folded Spill
	buffer_store_dword v2, off, s[0:3], 0 offset:1128 ; 4-byte Folded Spill
	;; [unrolled: 1-line block ×31, first 2 shown]
	v_cndmask_b32_e64 v146, v56, v36, s[8:9]
	v_cndmask_b32_e64 v110, v57, v36, s[10:11]
	v_cndmask_b32_e32 v170, v66, v38, vcc
	v_cndmask_b32_e64 v184, v67, v38, s[8:9]
	v_cndmask_b32_e64 v226, v68, v38, s[10:11]
	;; [unrolled: 1-line block ×3, first 2 shown]
	v_cndmask_b32_e32 v15, v26, v29, vcc
	v_accvgpr_write_b32 a44, v18
	buffer_store_dword v0, off, s[0:3], 0 offset:1632 ; 4-byte Folded Spill
	s_nop 0
	buffer_store_dword v1, off, s[0:3], 0 offset:1636 ; 4-byte Folded Spill
	buffer_store_dword v2, off, s[0:3], 0 offset:1640 ; 4-byte Folded Spill
	;; [unrolled: 1-line block ×31, first 2 shown]
	v_cndmask_b32_e32 v14, v22, v28, vcc
	buffer_store_dword v0, off, s[0:3], 0 offset:1248 ; 4-byte Folded Spill
	s_nop 0
	buffer_store_dword v1, off, s[0:3], 0 offset:1252 ; 4-byte Folded Spill
	buffer_store_dword v2, off, s[0:3], 0 offset:1256 ; 4-byte Folded Spill
	buffer_store_dword v3, off, s[0:3], 0 offset:1260 ; 4-byte Folded Spill
	buffer_store_dword v4, off, s[0:3], 0 offset:1264 ; 4-byte Folded Spill
	buffer_store_dword v5, off, s[0:3], 0 offset:1268 ; 4-byte Folded Spill
	buffer_store_dword v6, off, s[0:3], 0 offset:1272 ; 4-byte Folded Spill
	buffer_store_dword v7, off, s[0:3], 0 offset:1276 ; 4-byte Folded Spill
	buffer_store_dword v8, off, s[0:3], 0 offset:1280 ; 4-byte Folded Spill
	buffer_store_dword v9, off, s[0:3], 0 offset:1284 ; 4-byte Folded Spill
	buffer_store_dword v10, off, s[0:3], 0 offset:1288 ; 4-byte Folded Spill
	buffer_store_dword v11, off, s[0:3], 0 offset:1292 ; 4-byte Folded Spill
	buffer_store_dword v12, off, s[0:3], 0 offset:1296 ; 4-byte Folded Spill
	buffer_store_dword v13, off, s[0:3], 0 offset:1300 ; 4-byte Folded Spill
	buffer_store_dword v14, off, s[0:3], 0 offset:1304 ; 4-byte Folded Spill
	buffer_store_dword v15, off, s[0:3], 0 offset:1308 ; 4-byte Folded Spill
	buffer_store_dword v16, off, s[0:3], 0 offset:1312 ; 4-byte Folded Spill
	buffer_store_dword v17, off, s[0:3], 0 offset:1316 ; 4-byte Folded Spill
	buffer_store_dword v18, off, s[0:3], 0 offset:1320 ; 4-byte Folded Spill
	buffer_store_dword v19, off, s[0:3], 0 offset:1324 ; 4-byte Folded Spill
	buffer_store_dword v20, off, s[0:3], 0 offset:1328 ; 4-byte Folded Spill
	buffer_store_dword v21, off, s[0:3], 0 offset:1332 ; 4-byte Folded Spill
	buffer_store_dword v22, off, s[0:3], 0 offset:1336 ; 4-byte Folded Spill
	buffer_store_dword v23, off, s[0:3], 0 offset:1340 ; 4-byte Folded Spill
	buffer_store_dword v24, off, s[0:3], 0 offset:1344 ; 4-byte Folded Spill
	buffer_store_dword v25, off, s[0:3], 0 offset:1348 ; 4-byte Folded Spill
	buffer_store_dword v26, off, s[0:3], 0 offset:1352 ; 4-byte Folded Spill
	buffer_store_dword v27, off, s[0:3], 0 offset:1356 ; 4-byte Folded Spill
	buffer_store_dword v28, off, s[0:3], 0 offset:1360 ; 4-byte Folded Spill
	buffer_store_dword v29, off, s[0:3], 0 offset:1364 ; 4-byte Folded Spill
	buffer_store_dword v30, off, s[0:3], 0 offset:1368 ; 4-byte Folded Spill
	buffer_store_dword v31, off, s[0:3], 0 offset:1372 ; 4-byte Folded Spill
	v_cndmask_b32_e64 v13, v25, v29, s[8:9]
	buffer_store_dword v0, off, s[0:3], 0 offset:1760 ; 4-byte Folded Spill
	s_nop 0
	buffer_store_dword v1, off, s[0:3], 0 offset:1764 ; 4-byte Folded Spill
	buffer_store_dword v2, off, s[0:3], 0 offset:1768 ; 4-byte Folded Spill
	buffer_store_dword v3, off, s[0:3], 0 offset:1772 ; 4-byte Folded Spill
	buffer_store_dword v4, off, s[0:3], 0 offset:1776 ; 4-byte Folded Spill
	buffer_store_dword v5, off, s[0:3], 0 offset:1780 ; 4-byte Folded Spill
	buffer_store_dword v6, off, s[0:3], 0 offset:1784 ; 4-byte Folded Spill
	buffer_store_dword v7, off, s[0:3], 0 offset:1788 ; 4-byte Folded Spill
	buffer_store_dword v8, off, s[0:3], 0 offset:1792 ; 4-byte Folded Spill
	buffer_store_dword v9, off, s[0:3], 0 offset:1796 ; 4-byte Folded Spill
	buffer_store_dword v10, off, s[0:3], 0 offset:1800 ; 4-byte Folded Spill
	buffer_store_dword v11, off, s[0:3], 0 offset:1804 ; 4-byte Folded Spill
	buffer_store_dword v12, off, s[0:3], 0 offset:1808 ; 4-byte Folded Spill
	buffer_store_dword v13, off, s[0:3], 0 offset:1812 ; 4-byte Folded Spill
	buffer_store_dword v14, off, s[0:3], 0 offset:1816 ; 4-byte Folded Spill
	buffer_store_dword v15, off, s[0:3], 0 offset:1820 ; 4-byte Folded Spill
	buffer_store_dword v16, off, s[0:3], 0 offset:1824 ; 4-byte Folded Spill
	buffer_store_dword v17, off, s[0:3], 0 offset:1828 ; 4-byte Folded Spill
	buffer_store_dword v18, off, s[0:3], 0 offset:1832 ; 4-byte Folded Spill
	buffer_store_dword v19, off, s[0:3], 0 offset:1836 ; 4-byte Folded Spill
	buffer_store_dword v20, off, s[0:3], 0 offset:1840 ; 4-byte Folded Spill
	buffer_store_dword v21, off, s[0:3], 0 offset:1844 ; 4-byte Folded Spill
	buffer_store_dword v22, off, s[0:3], 0 offset:1848 ; 4-byte Folded Spill
	buffer_store_dword v23, off, s[0:3], 0 offset:1852 ; 4-byte Folded Spill
	buffer_store_dword v24, off, s[0:3], 0 offset:1856 ; 4-byte Folded Spill
	buffer_store_dword v25, off, s[0:3], 0 offset:1860 ; 4-byte Folded Spill
	buffer_store_dword v26, off, s[0:3], 0 offset:1864 ; 4-byte Folded Spill
	buffer_store_dword v27, off, s[0:3], 0 offset:1868 ; 4-byte Folded Spill
	buffer_store_dword v28, off, s[0:3], 0 offset:1872 ; 4-byte Folded Spill
	buffer_store_dword v29, off, s[0:3], 0 offset:1876 ; 4-byte Folded Spill
	buffer_store_dword v30, off, s[0:3], 0 offset:1880 ; 4-byte Folded Spill
	buffer_store_dword v31, off, s[0:3], 0 offset:1884 ; 4-byte Folded Spill
	v_cndmask_b32_e64 v14, v21, v28, s[8:9]
	;; [unrolled: 34-line block ×3, first 2 shown]
	v_cndmask_b32_e64 v14, v20, v28, s[10:11]
	v_accvgpr_write_b32 a11, v13
	buffer_store_dword v4, off, s[0:3], 0 offset:1504 ; 4-byte Folded Spill
	s_nop 0
	buffer_store_dword v5, off, s[0:3], 0 offset:1508 ; 4-byte Folded Spill
	buffer_store_dword v6, off, s[0:3], 0 offset:1512 ; 4-byte Folded Spill
	;; [unrolled: 1-line block ×31, first 2 shown]
	v_cndmask_b32_e64 v17, v58, v37, s[12:13]
	buffer_store_dword v0, off, s[0:3], 0 offset:736 ; 4-byte Folded Spill
	s_nop 0
	buffer_store_dword v1, off, s[0:3], 0 offset:740 ; 4-byte Folded Spill
	buffer_store_dword v2, off, s[0:3], 0 offset:744 ; 4-byte Folded Spill
	;; [unrolled: 1-line block ×31, first 2 shown]
	v_cndmask_b32_e64 v18, v54, v36, s[12:13]
	buffer_store_dword v2, off, s[0:3], 0 offset:480 ; 4-byte Folded Spill
	s_nop 0
	buffer_store_dword v3, off, s[0:3], 0 offset:484 ; 4-byte Folded Spill
	buffer_store_dword v4, off, s[0:3], 0 offset:488 ; 4-byte Folded Spill
	;; [unrolled: 1-line block ×31, first 2 shown]
	v_cndmask_b32_e32 v15, v59, v37, vcc
	buffer_store_dword v0, off, s[0:3], 0 offset:992 ; 4-byte Folded Spill
	s_nop 0
	buffer_store_dword v1, off, s[0:3], 0 offset:996 ; 4-byte Folded Spill
	buffer_store_dword v2, off, s[0:3], 0 offset:1000 ; 4-byte Folded Spill
	buffer_store_dword v3, off, s[0:3], 0 offset:1004 ; 4-byte Folded Spill
	buffer_store_dword v4, off, s[0:3], 0 offset:1008 ; 4-byte Folded Spill
	buffer_store_dword v5, off, s[0:3], 0 offset:1012 ; 4-byte Folded Spill
	buffer_store_dword v6, off, s[0:3], 0 offset:1016 ; 4-byte Folded Spill
	buffer_store_dword v7, off, s[0:3], 0 offset:1020 ; 4-byte Folded Spill
	buffer_store_dword v8, off, s[0:3], 0 offset:1024 ; 4-byte Folded Spill
	buffer_store_dword v9, off, s[0:3], 0 offset:1028 ; 4-byte Folded Spill
	buffer_store_dword v10, off, s[0:3], 0 offset:1032 ; 4-byte Folded Spill
	buffer_store_dword v11, off, s[0:3], 0 offset:1036 ; 4-byte Folded Spill
	buffer_store_dword v12, off, s[0:3], 0 offset:1040 ; 4-byte Folded Spill
	buffer_store_dword v13, off, s[0:3], 0 offset:1044 ; 4-byte Folded Spill
	buffer_store_dword v14, off, s[0:3], 0 offset:1048 ; 4-byte Folded Spill
	buffer_store_dword v15, off, s[0:3], 0 offset:1052 ; 4-byte Folded Spill
	buffer_store_dword v16, off, s[0:3], 0 offset:1056 ; 4-byte Folded Spill
	buffer_store_dword v17, off, s[0:3], 0 offset:1060 ; 4-byte Folded Spill
	buffer_store_dword v18, off, s[0:3], 0 offset:1064 ; 4-byte Folded Spill
	buffer_store_dword v19, off, s[0:3], 0 offset:1068 ; 4-byte Folded Spill
	buffer_store_dword v20, off, s[0:3], 0 offset:1072 ; 4-byte Folded Spill
	buffer_store_dword v21, off, s[0:3], 0 offset:1076 ; 4-byte Folded Spill
	buffer_store_dword v22, off, s[0:3], 0 offset:1080 ; 4-byte Folded Spill
	buffer_store_dword v23, off, s[0:3], 0 offset:1084 ; 4-byte Folded Spill
	buffer_store_dword v24, off, s[0:3], 0 offset:1088 ; 4-byte Folded Spill
	buffer_store_dword v25, off, s[0:3], 0 offset:1092 ; 4-byte Folded Spill
	buffer_store_dword v26, off, s[0:3], 0 offset:1096 ; 4-byte Folded Spill
	buffer_store_dword v27, off, s[0:3], 0 offset:1100 ; 4-byte Folded Spill
	buffer_store_dword v28, off, s[0:3], 0 offset:1104 ; 4-byte Folded Spill
	buffer_store_dword v29, off, s[0:3], 0 offset:1108 ; 4-byte Folded Spill
	buffer_store_dword v30, off, s[0:3], 0 offset:1112 ; 4-byte Folded Spill
	buffer_store_dword v31, off, s[0:3], 0 offset:1116 ; 4-byte Folded Spill
	v_cndmask_b32_e32 v14, v55, v36, vcc
	buffer_store_dword v0, off, s[0:3], 0 offset:864 ; 4-byte Folded Spill
	s_nop 0
	buffer_store_dword v1, off, s[0:3], 0 offset:868 ; 4-byte Folded Spill
	buffer_store_dword v2, off, s[0:3], 0 offset:872 ; 4-byte Folded Spill
	;; [unrolled: 1-line block ×31, first 2 shown]
	v_cndmask_b32_e64 v13, v60, v37, s[8:9]
	v_accvgpr_write_b32 a139, v13
	v_cndmask_b32_e64 v13, v61, v37, s[10:11]
	v_accvgpr_write_b32 a151, v13
	v_cndmask_b32_e64 v13, v71, v39, s[8:9]
	v_cndmask_b32_e64 v17, v69, v39, s[12:13]
	v_cndmask_b32_e32 v15, v70, v39, vcc
	v_accvgpr_write_b32 a185, v13
	v_cndmask_b32_e64 v13, v72, v39, s[10:11]
	v_accvgpr_write_b32 a61, v17
	v_accvgpr_write_b32 a77, v15
	;; [unrolled: 1-line block ×3, first 2 shown]
	v_cndmask_b32_e64 v16, v16, v38, s[12:13]
.LBB4_44:
	s_or_b64 exec, exec, s[56:57]
	buffer_store_dword v7, off, s[0:3], 0 offset:80
	s_and_saveexec_b64 s[20:21], s[4:5]
	s_cbranch_execz .LBB4_53
; %bb.45:
	s_mov_b64 s[22:23], 0
	s_branch .LBB4_47
.LBB4_46:                               ;   in Loop: Header=BB4_47 Depth=1
	s_or_b64 exec, exec, s[10:11]
	s_waitcnt vmcnt(0)
	v_cmp_gt_i32_e32 vcc, 0, v4
	s_or_b64 s[22:23], vcc, s[22:23]
	v_mov_b32_e32 v10, v4
	s_andn2_b64 exec, exec, s[22:23]
	s_cbranch_execz .LBB4_53
.LBB4_47:                               ; =>This Inner Loop Header: Depth=1
	buffer_load_dword a12, off, s[0:3], 0 offset:352 ; 4-byte Folded Reload
	buffer_load_dword a13, off, s[0:3], 0 offset:356 ; 4-byte Folded Reload
	;; [unrolled: 1-line block ×64, first 2 shown]
	v_cmp_eq_u32_e32 vcc, 1, v10
	v_cndmask_b32_e32 v4, v119, v117, vcc
	v_cmp_eq_u32_e64 s[8:9], 2, v10
	v_cndmask_b32_e64 v4, v4, v115, s[8:9]
	v_cmp_eq_u32_e64 s[10:11], 3, v10
	v_cmp_eq_u32_e64 s[12:13], 4, v10
	;; [unrolled: 1-line block ×3, first 2 shown]
	v_accvgpr_read_b32 v13, a11
	v_cmp_eq_u32_e64 s[16:17], 6, v10
	v_cmp_eq_u32_e64 s[18:19], 7, v10
	v_cndmask_b32_e32 v6, v118, v116, vcc
	v_cndmask_b32_e64 v6, v6, v114, s[8:9]
	v_cmp_eq_u32_e32 vcc, 8, v10
	s_mov_b64 s[8:9], 0
	s_waitcnt vmcnt(56)
	v_accvgpr_read_b32 v14, a18
	s_waitcnt vmcnt(22)
	v_pk_mov_b32 v[18:19], v[50:51], v[50:51] op_sel:[0,1]
	buffer_load_dword v42, off, s[0:3], 0 offset:1760 ; 4-byte Folded Reload
	buffer_load_dword v43, off, s[0:3], 0 offset:1764 ; 4-byte Folded Reload
	;; [unrolled: 1-line block ×32, first 2 shown]
	v_accvgpr_read_b32 v15, a19
	v_cndmask_b32_e64 v4, v4, v15, s[10:11]
	v_cndmask_b32_e64 v4, v4, v19, s[12:13]
	;; [unrolled: 1-line block ×5, first 2 shown]
	v_accvgpr_read_b32 v18, a44
	s_waitcnt vmcnt(18)
	v_cndmask_b32_e64 v4, v4, v55, s[16:17]
	buffer_load_dword v42, off, s[0:3], 0 offset:1632 ; 4-byte Folded Reload
	buffer_load_dword v43, off, s[0:3], 0 offset:1636 ; 4-byte Folded Reload
	buffer_load_dword v44, off, s[0:3], 0 offset:1640 ; 4-byte Folded Reload
	buffer_load_dword v45, off, s[0:3], 0 offset:1644 ; 4-byte Folded Reload
	buffer_load_dword v46, off, s[0:3], 0 offset:1648 ; 4-byte Folded Reload
	buffer_load_dword v47, off, s[0:3], 0 offset:1652 ; 4-byte Folded Reload
	buffer_load_dword v48, off, s[0:3], 0 offset:1656 ; 4-byte Folded Reload
	buffer_load_dword v49, off, s[0:3], 0 offset:1660 ; 4-byte Folded Reload
	buffer_load_dword v50, off, s[0:3], 0 offset:1664 ; 4-byte Folded Reload
	buffer_load_dword v51, off, s[0:3], 0 offset:1668 ; 4-byte Folded Reload
	buffer_load_dword v52, off, s[0:3], 0 offset:1672 ; 4-byte Folded Reload
	buffer_load_dword v53, off, s[0:3], 0 offset:1676 ; 4-byte Folded Reload
	buffer_load_dword v54, off, s[0:3], 0 offset:1680 ; 4-byte Folded Reload
	buffer_load_dword v55, off, s[0:3], 0 offset:1684 ; 4-byte Folded Reload
	buffer_load_dword v56, off, s[0:3], 0 offset:1688 ; 4-byte Folded Reload
	buffer_load_dword v57, off, s[0:3], 0 offset:1692 ; 4-byte Folded Reload
	buffer_load_dword v58, off, s[0:3], 0 offset:1696 ; 4-byte Folded Reload
	buffer_load_dword v59, off, s[0:3], 0 offset:1700 ; 4-byte Folded Reload
	buffer_load_dword v60, off, s[0:3], 0 offset:1704 ; 4-byte Folded Reload
	buffer_load_dword v61, off, s[0:3], 0 offset:1708 ; 4-byte Folded Reload
	buffer_load_dword v62, off, s[0:3], 0 offset:1712 ; 4-byte Folded Reload
	buffer_load_dword v63, off, s[0:3], 0 offset:1716 ; 4-byte Folded Reload
	buffer_load_dword v64, off, s[0:3], 0 offset:1720 ; 4-byte Folded Reload
	buffer_load_dword v65, off, s[0:3], 0 offset:1724 ; 4-byte Folded Reload
	buffer_load_dword v66, off, s[0:3], 0 offset:1728 ; 4-byte Folded Reload
	buffer_load_dword v67, off, s[0:3], 0 offset:1732 ; 4-byte Folded Reload
	buffer_load_dword v68, off, s[0:3], 0 offset:1736 ; 4-byte Folded Reload
	buffer_load_dword v69, off, s[0:3], 0 offset:1740 ; 4-byte Folded Reload
	buffer_load_dword v70, off, s[0:3], 0 offset:1744 ; 4-byte Folded Reload
	buffer_load_dword v71, off, s[0:3], 0 offset:1748 ; 4-byte Folded Reload
	buffer_load_dword v72, off, s[0:3], 0 offset:1752 ; 4-byte Folded Reload
	buffer_load_dword v73, off, s[0:3], 0 offset:1756 ; 4-byte Folded Reload
	s_waitcnt vmcnt(16)
	v_cndmask_b32_e64 v4, v4, v57, s[18:19]
	buffer_load_dword v42, off, s[0:3], 0 offset:1504 ; 4-byte Folded Reload
	buffer_load_dword v43, off, s[0:3], 0 offset:1508 ; 4-byte Folded Reload
	buffer_load_dword v44, off, s[0:3], 0 offset:1512 ; 4-byte Folded Reload
	buffer_load_dword v45, off, s[0:3], 0 offset:1516 ; 4-byte Folded Reload
	buffer_load_dword v46, off, s[0:3], 0 offset:1520 ; 4-byte Folded Reload
	buffer_load_dword v47, off, s[0:3], 0 offset:1524 ; 4-byte Folded Reload
	buffer_load_dword v48, off, s[0:3], 0 offset:1528 ; 4-byte Folded Reload
	buffer_load_dword v49, off, s[0:3], 0 offset:1532 ; 4-byte Folded Reload
	buffer_load_dword v50, off, s[0:3], 0 offset:1536 ; 4-byte Folded Reload
	buffer_load_dword v51, off, s[0:3], 0 offset:1540 ; 4-byte Folded Reload
	buffer_load_dword v52, off, s[0:3], 0 offset:1544 ; 4-byte Folded Reload
	buffer_load_dword v53, off, s[0:3], 0 offset:1548 ; 4-byte Folded Reload
	buffer_load_dword v54, off, s[0:3], 0 offset:1552 ; 4-byte Folded Reload
	buffer_load_dword v55, off, s[0:3], 0 offset:1556 ; 4-byte Folded Reload
	buffer_load_dword v56, off, s[0:3], 0 offset:1560 ; 4-byte Folded Reload
	buffer_load_dword v57, off, s[0:3], 0 offset:1564 ; 4-byte Folded Reload
	buffer_load_dword v58, off, s[0:3], 0 offset:1568 ; 4-byte Folded Reload
	buffer_load_dword v59, off, s[0:3], 0 offset:1572 ; 4-byte Folded Reload
	buffer_load_dword v60, off, s[0:3], 0 offset:1576 ; 4-byte Folded Reload
	buffer_load_dword v61, off, s[0:3], 0 offset:1580 ; 4-byte Folded Reload
	buffer_load_dword v62, off, s[0:3], 0 offset:1584 ; 4-byte Folded Reload
	buffer_load_dword v63, off, s[0:3], 0 offset:1588 ; 4-byte Folded Reload
	buffer_load_dword v64, off, s[0:3], 0 offset:1592 ; 4-byte Folded Reload
	buffer_load_dword v65, off, s[0:3], 0 offset:1596 ; 4-byte Folded Reload
	buffer_load_dword v66, off, s[0:3], 0 offset:1600 ; 4-byte Folded Reload
	buffer_load_dword v67, off, s[0:3], 0 offset:1604 ; 4-byte Folded Reload
	buffer_load_dword v68, off, s[0:3], 0 offset:1608 ; 4-byte Folded Reload
	buffer_load_dword v69, off, s[0:3], 0 offset:1612 ; 4-byte Folded Reload
	buffer_load_dword v70, off, s[0:3], 0 offset:1616 ; 4-byte Folded Reload
	buffer_load_dword v71, off, s[0:3], 0 offset:1620 ; 4-byte Folded Reload
	buffer_load_dword v72, off, s[0:3], 0 offset:1624 ; 4-byte Folded Reload
	buffer_load_dword v73, off, s[0:3], 0 offset:1628 ; 4-byte Folded Reload
	;; [unrolled: 34-line block ×5, first 2 shown]
	v_cndmask_b32_e32 v6, v6, v18, vcc
	s_waitcnt vmcnt(14)
	v_cndmask_b32_e32 v7, v4, v59, vcc
	v_cmp_ngt_f64_e32 vcc, 0, v[6:7]
	v_lshl_add_u32 v7, v10, 2, v208
	buffer_load_dword v4, v7, s[0:3], 0 offen
                                        ; implicit-def: $vgpr6
	s_and_saveexec_b64 s[10:11], vcc
	s_xor_b64 s[10:11], exec, s[10:11]
	s_cbranch_execnz .LBB4_50
; %bb.48:                               ;   in Loop: Header=BB4_47 Depth=1
	s_andn2_saveexec_b64 s[10:11], s[10:11]
	s_cbranch_execnz .LBB4_51
.LBB4_49:                               ;   in Loop: Header=BB4_47 Depth=1
	s_or_b64 exec, exec, s[10:11]
	s_and_saveexec_b64 s[10:11], s[8:9]
	s_cbranch_execz .LBB4_46
	s_branch .LBB4_52
.LBB4_50:                               ;   in Loop: Header=BB4_47 Depth=1
	buffer_load_dword v6, off, s[0:3], 0 offset:80
                                        ; implicit-def: $vgpr7
	s_waitcnt vmcnt(0)
	v_cmp_eq_u32_e32 vcc, -1, v6
	v_mov_b32_e32 v6, 0x50
	s_and_b64 s[8:9], vcc, exec
	s_andn2_saveexec_b64 s[10:11], s[10:11]
	s_cbranch_execz .LBB4_49
.LBB4_51:                               ;   in Loop: Header=BB4_47 Depth=1
	buffer_load_dword v9, off, s[0:3], 0 offset:84
	v_mov_b32_e32 v6, 0x54
	s_or_b64 s[8:9], s[8:9], exec
	s_waitcnt vmcnt(0)
	buffer_store_dword v9, v7, s[0:3], 0 offen
	s_or_b64 exec, exec, s[10:11]
	s_and_saveexec_b64 s[10:11], s[8:9]
	s_cbranch_execz .LBB4_46
.LBB4_52:                               ;   in Loop: Header=BB4_47 Depth=1
	buffer_store_dword v10, v6, s[0:3], 0 offen
	s_branch .LBB4_46
.LBB4_53:
	s_or_b64 exec, exec, s[20:21]
	s_and_saveexec_b64 s[8:9], s[6:7]
	s_cbranch_execz .LBB4_55
; %bb.54:
	v_cmp_gt_f64_e32 vcc, 0, v[0:1]
	v_mov_b32_e32 v0, 0
	v_cmp_gt_f64_e64 s[6:7], 0, v[2:3]
	s_and_b64 s[4:5], s[4:5], vcc
	v_lshl_add_u32 v1, v11, 2, v0
	s_or_b64 s[4:5], s[6:7], s[4:5]
	v_lshl_add_u32 v4, v5, 2, v0
	v_cndmask_b32_e64 v2, v12, -1, s[4:5]
	v_lshl_add_u32 v0, v8, 2, v0
	buffer_store_dword v5, v1, s[0:3], 0 offen offset:40
	buffer_store_dword v8, v4, s[0:3], 0 offen offset:40
	;; [unrolled: 1-line block ×3, first 2 shown]
.LBB4_55:
	s_or_b64 exec, exec, s[8:9]
	buffer_load_dword v10, off, s[0:3], 0 offset:80
	buffer_load_dword v42, off, s[0:3], 0 offset:992 ; 4-byte Folded Reload
	buffer_load_dword v43, off, s[0:3], 0 offset:996 ; 4-byte Folded Reload
	;; [unrolled: 1-line block ×32, first 2 shown]
	v_accvgpr_read_b32 v11, a151
	v_accvgpr_read_b32 v13, a139
	v_pk_mov_b32 v[4:5], -1, -1
	v_mov_b32_e32 v12, -1
	v_pk_mov_b32 v[6:7], v[4:5], v[4:5] op_sel:[0,1]
	s_waitcnt vmcnt(32)
	v_cmp_eq_u32_e32 vcc, 1, v10
	v_cndmask_b32_e32 v0, v253, v249, vcc
	v_cmp_eq_u32_e64 s[4:5], 2, v10
	v_cndmask_b32_e64 v0, v0, v255, s[4:5]
	v_cmp_eq_u32_e64 s[6:7], 3, v10
	v_cndmask_b32_e32 v1, v252, v248, vcc
	v_cndmask_b32_e64 v0, v0, v41, s[6:7]
	v_cndmask_b32_e64 v1, v1, v254, s[4:5]
	v_cmp_eq_u32_e32 vcc, 4, v10
	v_cndmask_b32_e32 v0, v0, v75, vcc
	v_cndmask_b32_e64 v1, v1, v40, s[6:7]
	v_cmp_eq_u32_e64 s[4:5], 5, v10
	v_cndmask_b32_e64 v0, v0, v11, s[4:5]
	v_cndmask_b32_e32 v1, v1, v74, vcc
	v_cmp_eq_u32_e32 vcc, 6, v10
	v_cndmask_b32_e32 v0, v0, v13, vcc
	v_cndmask_b32_e64 v1, v1, v110, s[4:5]
	v_cmp_eq_u32_e64 s[4:5], 7, v10
	s_waitcnt vmcnt(16)
	v_cndmask_b32_e64 v0, v0, v57, s[4:5]
	buffer_load_dword v42, off, s[0:3], 0 offset:864 ; 4-byte Folded Reload
	buffer_load_dword v43, off, s[0:3], 0 offset:868 ; 4-byte Folded Reload
	buffer_load_dword v44, off, s[0:3], 0 offset:872 ; 4-byte Folded Reload
	buffer_load_dword v45, off, s[0:3], 0 offset:876 ; 4-byte Folded Reload
	buffer_load_dword v46, off, s[0:3], 0 offset:880 ; 4-byte Folded Reload
	buffer_load_dword v47, off, s[0:3], 0 offset:884 ; 4-byte Folded Reload
	buffer_load_dword v48, off, s[0:3], 0 offset:888 ; 4-byte Folded Reload
	buffer_load_dword v49, off, s[0:3], 0 offset:892 ; 4-byte Folded Reload
	buffer_load_dword v50, off, s[0:3], 0 offset:896 ; 4-byte Folded Reload
	buffer_load_dword v51, off, s[0:3], 0 offset:900 ; 4-byte Folded Reload
	buffer_load_dword v52, off, s[0:3], 0 offset:904 ; 4-byte Folded Reload
	buffer_load_dword v53, off, s[0:3], 0 offset:908 ; 4-byte Folded Reload
	buffer_load_dword v54, off, s[0:3], 0 offset:912 ; 4-byte Folded Reload
	buffer_load_dword v55, off, s[0:3], 0 offset:916 ; 4-byte Folded Reload
	buffer_load_dword v56, off, s[0:3], 0 offset:920 ; 4-byte Folded Reload
	buffer_load_dword v57, off, s[0:3], 0 offset:924 ; 4-byte Folded Reload
	buffer_load_dword v58, off, s[0:3], 0 offset:928 ; 4-byte Folded Reload
	buffer_load_dword v59, off, s[0:3], 0 offset:932 ; 4-byte Folded Reload
	buffer_load_dword v60, off, s[0:3], 0 offset:936 ; 4-byte Folded Reload
	buffer_load_dword v61, off, s[0:3], 0 offset:940 ; 4-byte Folded Reload
	buffer_load_dword v62, off, s[0:3], 0 offset:944 ; 4-byte Folded Reload
	buffer_load_dword v63, off, s[0:3], 0 offset:948 ; 4-byte Folded Reload
	buffer_load_dword v64, off, s[0:3], 0 offset:952 ; 4-byte Folded Reload
	buffer_load_dword v65, off, s[0:3], 0 offset:956 ; 4-byte Folded Reload
	buffer_load_dword v66, off, s[0:3], 0 offset:960 ; 4-byte Folded Reload
	buffer_load_dword v67, off, s[0:3], 0 offset:964 ; 4-byte Folded Reload
	buffer_load_dword v68, off, s[0:3], 0 offset:968 ; 4-byte Folded Reload
	buffer_load_dword v69, off, s[0:3], 0 offset:972 ; 4-byte Folded Reload
	buffer_load_dword v70, off, s[0:3], 0 offset:976 ; 4-byte Folded Reload
	buffer_load_dword v71, off, s[0:3], 0 offset:980 ; 4-byte Folded Reload
	buffer_load_dword v72, off, s[0:3], 0 offset:984 ; 4-byte Folded Reload
	buffer_load_dword v73, off, s[0:3], 0 offset:988 ; 4-byte Folded Reload
	v_cndmask_b32_e32 v1, v1, v146, vcc
	v_cmp_eq_u32_e32 vcc, 8, v10
	v_mov_b32_e32 v11, -1
	s_waitcnt vmcnt(17)
	v_cndmask_b32_e64 v2, v1, v56, s[4:5]
	buffer_load_dword v42, off, s[0:3], 0 offset:736 ; 4-byte Folded Reload
	buffer_load_dword v43, off, s[0:3], 0 offset:740 ; 4-byte Folded Reload
	;; [unrolled: 1-line block ×32, first 2 shown]
	v_cmp_lt_i32_e64 s[4:5], -1, v10
	s_waitcnt vmcnt(14)
	v_cndmask_b32_e32 v1, v0, v59, vcc
	buffer_load_dword v42, off, s[0:3], 0 offset:480 ; 4-byte Folded Reload
	buffer_load_dword v43, off, s[0:3], 0 offset:484 ; 4-byte Folded Reload
	;; [unrolled: 1-line block ×32, first 2 shown]
	s_waitcnt vmcnt(15)
	v_cndmask_b32_e32 v0, v2, v58, vcc
	v_pk_mov_b32 v[2:3], 0, 0
	s_and_saveexec_b64 s[14:15], s[4:5]
	s_cbranch_execz .LBB4_59
; %bb.56:
	buffer_load_dword v42, off, s[0:3], 0 offset:736 ; 4-byte Folded Reload
	buffer_load_dword v43, off, s[0:3], 0 offset:740 ; 4-byte Folded Reload
	;; [unrolled: 1-line block ×32, first 2 shown]
	s_mov_b64 s[16:17], 0
	v_mov_b32_e32 v11, -1
	v_mov_b32_e32 v5, v10
	v_mov_b32_e32 v4, -1
	v_mov_b32_e32 v6, -1
	;; [unrolled: 1-line block ×3, first 2 shown]
	v_pk_mov_b32 v[8:9], v[0:1], v[0:1] op_sel:[0,1]
	v_accvgpr_read_b32 v21, a139
	v_accvgpr_read_b32 v23, a151
	s_waitcnt vmcnt(14)
	v_mov_b32_e32 v17, v59
	buffer_load_dword v42, off, s[0:3], 0 offset:992 ; 4-byte Folded Reload
	buffer_load_dword v43, off, s[0:3], 0 offset:996 ; 4-byte Folded Reload
	;; [unrolled: 1-line block ×64, first 2 shown]
	s_waitcnt vmcnt(48)
	v_mov_b32_e32 v19, v57
	buffer_load_dword v42, off, s[0:3], 0 offset:864 ; 4-byte Folded Reload
	buffer_load_dword v43, off, s[0:3], 0 offset:868 ; 4-byte Folded Reload
	;; [unrolled: 1-line block ×32, first 2 shown]
	s_waitcnt vmcnt(47)
	v_accvgpr_read_b32 v18, a28
	s_waitcnt vmcnt(17)
	v_mov_b32_e32 v20, v56
.LBB4_57:                               ; =>This Inner Loop Header: Depth=1
	v_lshl_add_u32 v2, v5, 2, v208
	buffer_load_dword v7, v2, s[0:3], 0 offen
	s_waitcnt vmcnt(0)
	v_cmp_gt_i32_e32 vcc, 0, v7
	v_cndmask_b32_e32 v13, v7, v10, vcc
	v_cmp_eq_u32_e64 s[6:7], 1, v13
	v_cndmask_b32_e64 v2, v253, v249, s[6:7]
	v_cmp_eq_u32_e64 s[8:9], 2, v13
	v_cndmask_b32_e64 v3, v252, v248, s[6:7]
	v_cndmask_b32_e64 v2, v2, v255, s[8:9]
	v_cmp_eq_u32_e64 s[10:11], 3, v13
	v_cndmask_b32_e64 v3, v3, v254, s[8:9]
	;; [unrolled: 3-line block ×6, first 2 shown]
	v_cndmask_b32_e64 v2, v2, v19, s[8:9]
	v_cndmask_b32_e64 v3, v3, v20, s[8:9]
	v_cmp_eq_u32_e64 s[6:7], 8, v13
	v_cndmask_b32_e64 v15, v2, v17, s[6:7]
	v_cndmask_b32_e64 v14, v3, v18, s[6:7]
	v_pk_mov_b32 v[2:3], v[8:9], v[8:9] op_sel:[0,1]
	v_cmp_le_f64_e64 s[6:7], 0, v[2:3]
	v_cmp_gt_f64_e64 s[8:9], 0, v[2:3]
	v_cmp_gt_f64_e64 s[10:11], 0, v[14:15]
	v_cmp_le_f64_e64 s[12:13], 0, v[14:15]
	s_and_b64 s[6:7], s[6:7], s[10:11]
	s_and_b64 s[8:9], s[8:9], s[12:13]
	v_cndmask_b32_e64 v6, v6, v13, s[6:7]
	v_cndmask_b32_e64 v12, v12, v13, s[8:9]
	;; [unrolled: 1-line block ×4, first 2 shown]
	s_or_b64 s[16:17], vcc, s[16:17]
	v_mov_b32_e32 v5, v7
	v_pk_mov_b32 v[8:9], v[14:15], v[14:15] op_sel:[0,1]
	s_andn2_b64 exec, exec, s[16:17]
	s_cbranch_execnz .LBB4_57
; %bb.58:
	s_or_b64 exec, exec, s[16:17]
.LBB4_59:
	s_or_b64 exec, exec, s[14:15]
	v_cmp_lt_i32_e64 s[6:7], -1, v11
	v_mov_b32_e32 v7, -1
	v_mov_b32_e32 v5, -1
	;; [unrolled: 1-line block ×3, first 2 shown]
	s_and_saveexec_b64 s[56:57], s[6:7]
	s_cbranch_execz .LBB4_61
; %bb.60:
	buffer_load_dword a12, off, s[0:3], 0 offset:992 ; 4-byte Folded Reload
	buffer_load_dword a13, off, s[0:3], 0 offset:996 ; 4-byte Folded Reload
	;; [unrolled: 1-line block ×32, first 2 shown]
	v_cmp_eq_u32_e64 s[8:9], 1, v6
	v_cndmask_b32_e64 v5, v253, v249, s[8:9]
	v_cmp_eq_u32_e64 s[10:11], 2, v6
	v_cmp_eq_u32_e64 s[12:13], 3, v6
	;; [unrolled: 1-line block ×7, first 2 shown]
	v_cndmask_b32_e64 v6, v252, v248, s[8:9]
	v_cndmask_b32_e64 v5, v5, v255, s[10:11]
	;; [unrolled: 1-line block ×6, first 2 shown]
	s_waitcnt vmcnt(40)
	v_accvgpr_read_b32 v65, a151
	v_cndmask_b32_e64 v6, v6, v74, s[14:15]
	v_cndmask_b32_e64 v5, v5, v65, s[16:17]
	v_accvgpr_read_b32 v63, a139
	v_cndmask_b32_e64 v6, v6, v110, s[16:17]
	v_cndmask_b32_e64 v5, v5, v63, s[18:19]
	v_cndmask_b32_e64 v6, v6, v146, s[18:19]
	v_cmp_eq_u32_e64 s[24:25], 1, v11
	v_cmp_eq_u32_e64 s[26:27], 2, v11
	;; [unrolled: 1-line block ×8, first 2 shown]
	v_accvgpr_read_b32 v43, a117
	v_accvgpr_read_b32 v39, a165
	;; [unrolled: 1-line block ×8, first 2 shown]
	s_waitcnt vmcnt(32)
	v_accvgpr_read_b32 v73, a89
	v_accvgpr_read_b32 v71, a185
	;; [unrolled: 1-line block ×3, first 2 shown]
	s_waitcnt vmcnt(16)
	v_accvgpr_read_b32 v61, a27
	buffer_load_dword a12, off, s[0:3], 0 offset:864 ; 4-byte Folded Reload
	buffer_load_dword a13, off, s[0:3], 0 offset:868 ; 4-byte Folded Reload
	buffer_load_dword a14, off, s[0:3], 0 offset:872 ; 4-byte Folded Reload
	buffer_load_dword a15, off, s[0:3], 0 offset:876 ; 4-byte Folded Reload
	buffer_load_dword a16, off, s[0:3], 0 offset:880 ; 4-byte Folded Reload
	buffer_load_dword a17, off, s[0:3], 0 offset:884 ; 4-byte Folded Reload
	buffer_load_dword a18, off, s[0:3], 0 offset:888 ; 4-byte Folded Reload
	buffer_load_dword a19, off, s[0:3], 0 offset:892 ; 4-byte Folded Reload
	buffer_load_dword a20, off, s[0:3], 0 offset:896 ; 4-byte Folded Reload
	buffer_load_dword a21, off, s[0:3], 0 offset:900 ; 4-byte Folded Reload
	buffer_load_dword a22, off, s[0:3], 0 offset:904 ; 4-byte Folded Reload
	buffer_load_dword a23, off, s[0:3], 0 offset:908 ; 4-byte Folded Reload
	buffer_load_dword a24, off, s[0:3], 0 offset:912 ; 4-byte Folded Reload
	buffer_load_dword a25, off, s[0:3], 0 offset:916 ; 4-byte Folded Reload
	buffer_load_dword a26, off, s[0:3], 0 offset:920 ; 4-byte Folded Reload
	buffer_load_dword a27, off, s[0:3], 0 offset:924 ; 4-byte Folded Reload
	buffer_load_dword a28, off, s[0:3], 0 offset:928 ; 4-byte Folded Reload
	buffer_load_dword a29, off, s[0:3], 0 offset:932 ; 4-byte Folded Reload
	buffer_load_dword a30, off, s[0:3], 0 offset:936 ; 4-byte Folded Reload
	buffer_load_dword a31, off, s[0:3], 0 offset:940 ; 4-byte Folded Reload
	buffer_load_dword a32, off, s[0:3], 0 offset:944 ; 4-byte Folded Reload
	buffer_load_dword a33, off, s[0:3], 0 offset:948 ; 4-byte Folded Reload
	buffer_load_dword a34, off, s[0:3], 0 offset:952 ; 4-byte Folded Reload
	buffer_load_dword a35, off, s[0:3], 0 offset:956 ; 4-byte Folded Reload
	buffer_load_dword a36, off, s[0:3], 0 offset:960 ; 4-byte Folded Reload
	buffer_load_dword a37, off, s[0:3], 0 offset:964 ; 4-byte Folded Reload
	buffer_load_dword a38, off, s[0:3], 0 offset:968 ; 4-byte Folded Reload
	buffer_load_dword a39, off, s[0:3], 0 offset:972 ; 4-byte Folded Reload
	buffer_load_dword a40, off, s[0:3], 0 offset:976 ; 4-byte Folded Reload
	buffer_load_dword a41, off, s[0:3], 0 offset:980 ; 4-byte Folded Reload
	buffer_load_dword a42, off, s[0:3], 0 offset:984 ; 4-byte Folded Reload
	buffer_load_dword a43, off, s[0:3], 0 offset:988 ; 4-byte Folded Reload
	v_cndmask_b32_e64 v5, v5, v61, s[20:21]
	s_waitcnt vmcnt(17)
	v_accvgpr_read_b32 v56, a26
	buffer_load_dword a12, off, s[0:3], 0 offset:736 ; 4-byte Folded Reload
	buffer_load_dword a13, off, s[0:3], 0 offset:740 ; 4-byte Folded Reload
	buffer_load_dword a14, off, s[0:3], 0 offset:744 ; 4-byte Folded Reload
	buffer_load_dword a15, off, s[0:3], 0 offset:748 ; 4-byte Folded Reload
	buffer_load_dword a16, off, s[0:3], 0 offset:752 ; 4-byte Folded Reload
	buffer_load_dword a17, off, s[0:3], 0 offset:756 ; 4-byte Folded Reload
	buffer_load_dword a18, off, s[0:3], 0 offset:760 ; 4-byte Folded Reload
	buffer_load_dword a19, off, s[0:3], 0 offset:764 ; 4-byte Folded Reload
	buffer_load_dword a20, off, s[0:3], 0 offset:768 ; 4-byte Folded Reload
	buffer_load_dword a21, off, s[0:3], 0 offset:772 ; 4-byte Folded Reload
	buffer_load_dword a22, off, s[0:3], 0 offset:776 ; 4-byte Folded Reload
	buffer_load_dword a23, off, s[0:3], 0 offset:780 ; 4-byte Folded Reload
	buffer_load_dword a24, off, s[0:3], 0 offset:784 ; 4-byte Folded Reload
	buffer_load_dword a25, off, s[0:3], 0 offset:788 ; 4-byte Folded Reload
	buffer_load_dword a26, off, s[0:3], 0 offset:792 ; 4-byte Folded Reload
	buffer_load_dword a27, off, s[0:3], 0 offset:796 ; 4-byte Folded Reload
	buffer_load_dword a28, off, s[0:3], 0 offset:800 ; 4-byte Folded Reload
	buffer_load_dword a29, off, s[0:3], 0 offset:804 ; 4-byte Folded Reload
	buffer_load_dword a30, off, s[0:3], 0 offset:808 ; 4-byte Folded Reload
	buffer_load_dword a31, off, s[0:3], 0 offset:812 ; 4-byte Folded Reload
	buffer_load_dword a32, off, s[0:3], 0 offset:816 ; 4-byte Folded Reload
	buffer_load_dword a33, off, s[0:3], 0 offset:820 ; 4-byte Folded Reload
	buffer_load_dword a34, off, s[0:3], 0 offset:824 ; 4-byte Folded Reload
	buffer_load_dword a35, off, s[0:3], 0 offset:828 ; 4-byte Folded Reload
	buffer_load_dword a36, off, s[0:3], 0 offset:832 ; 4-byte Folded Reload
	buffer_load_dword a37, off, s[0:3], 0 offset:836 ; 4-byte Folded Reload
	buffer_load_dword a38, off, s[0:3], 0 offset:840 ; 4-byte Folded Reload
	buffer_load_dword a39, off, s[0:3], 0 offset:844 ; 4-byte Folded Reload
	buffer_load_dword a40, off, s[0:3], 0 offset:848 ; 4-byte Folded Reload
	buffer_load_dword a41, off, s[0:3], 0 offset:852 ; 4-byte Folded Reload
	buffer_load_dword a42, off, s[0:3], 0 offset:856 ; 4-byte Folded Reload
	buffer_load_dword a43, off, s[0:3], 0 offset:860 ; 4-byte Folded Reload
	v_cndmask_b32_e64 v6, v6, v56, s[20:21]
	;; [unrolled: 35-line block ×3, first 2 shown]
	v_cndmask_b32_e64 v5, v253, v249, s[24:25]
	v_cndmask_b32_e64 v5, v5, v255, s[26:27]
	;; [unrolled: 1-line block ×10, first 2 shown]
	s_waitcnt vmcnt(15)
	v_accvgpr_read_b32 v54, a28
	buffer_load_dword a12, off, s[0:3], 0 offset:224 ; 4-byte Folded Reload
	buffer_load_dword a13, off, s[0:3], 0 offset:228 ; 4-byte Folded Reload
	;; [unrolled: 1-line block ×32, first 2 shown]
	v_cndmask_b32_e64 v24, v6, v54, s[22:23]
	v_cndmask_b32_e64 v6, v252, v248, s[24:25]
	;; [unrolled: 1-line block ×9, first 2 shown]
	v_add_f64 v[8:9], -v[24:25], 0
	v_add_f64 v[14:15], v[26:27], -v[24:25]
	v_div_scale_f64 v[18:19], s[42:43], v[14:15], v[14:15], v[8:9]
	v_rcp_f64_e32 v[20:21], v[18:19]
	v_cndmask_b32_e64 v6, v112, v108, s[24:25]
	v_cndmask_b32_e64 v6, v6, v106, s[26:27]
	v_fma_f64 v[22:23], -v[18:19], v[20:21], 1.0
	v_fmac_f64_e32 v[20:21], v[20:21], v[22:23]
	v_fma_f64 v[22:23], -v[18:19], v[20:21], 1.0
	v_fmac_f64_e32 v[20:21], v[20:21], v[22:23]
	v_div_scale_f64 v[22:23], vcc, v[8:9], v[14:15], v[8:9]
	v_mul_f64 v[28:29], v[22:23], v[20:21]
	v_fma_f64 v[18:19], -v[18:19], v[28:29], v[22:23]
	s_nop 1
	v_div_fmas_f64 v[18:19], v[18:19], v[20:21], v[28:29]
	v_div_fixup_f64 v[28:29], v[18:19], v[14:15], v[8:9]
	v_add_f64 v[30:31], -v[28:29], 1.0
	v_mul_f64 v[24:25], v[24:25], v[30:31]
	v_fmac_f64_e32 v[24:25], v[26:27], v[28:29]
	v_cndmask_b32_e64 v26, v32, v250, s[8:9]
	v_cndmask_b32_e64 v26, v26, v204, s[10:11]
	;; [unrolled: 1-line block ×8, first 2 shown]
	s_waitcnt vmcnt(24)
	v_accvgpr_read_b32 v21, a19
	v_accvgpr_read_b32 v20, a18
	buffer_load_dword a12, off, s[0:3], 0 offset:96 ; 4-byte Folded Reload
	buffer_load_dword a13, off, s[0:3], 0 offset:100 ; 4-byte Folded Reload
	buffer_load_dword a14, off, s[0:3], 0 offset:104 ; 4-byte Folded Reload
	buffer_load_dword a15, off, s[0:3], 0 offset:108 ; 4-byte Folded Reload
	buffer_load_dword a16, off, s[0:3], 0 offset:112 ; 4-byte Folded Reload
	buffer_load_dword a17, off, s[0:3], 0 offset:116 ; 4-byte Folded Reload
	buffer_load_dword a18, off, s[0:3], 0 offset:120 ; 4-byte Folded Reload
	buffer_load_dword a19, off, s[0:3], 0 offset:124 ; 4-byte Folded Reload
	buffer_load_dword a20, off, s[0:3], 0 offset:128 ; 4-byte Folded Reload
	buffer_load_dword a21, off, s[0:3], 0 offset:132 ; 4-byte Folded Reload
	buffer_load_dword a22, off, s[0:3], 0 offset:136 ; 4-byte Folded Reload
	buffer_load_dword a23, off, s[0:3], 0 offset:140 ; 4-byte Folded Reload
	buffer_load_dword a24, off, s[0:3], 0 offset:144 ; 4-byte Folded Reload
	buffer_load_dword a25, off, s[0:3], 0 offset:148 ; 4-byte Folded Reload
	buffer_load_dword a26, off, s[0:3], 0 offset:152 ; 4-byte Folded Reload
	buffer_load_dword a27, off, s[0:3], 0 offset:156 ; 4-byte Folded Reload
	buffer_load_dword a28, off, s[0:3], 0 offset:160 ; 4-byte Folded Reload
	buffer_load_dword a29, off, s[0:3], 0 offset:164 ; 4-byte Folded Reload
	buffer_load_dword a30, off, s[0:3], 0 offset:168 ; 4-byte Folded Reload
	buffer_load_dword a31, off, s[0:3], 0 offset:172 ; 4-byte Folded Reload
	buffer_load_dword a32, off, s[0:3], 0 offset:176 ; 4-byte Folded Reload
	buffer_load_dword a33, off, s[0:3], 0 offset:180 ; 4-byte Folded Reload
	buffer_load_dword a34, off, s[0:3], 0 offset:184 ; 4-byte Folded Reload
	buffer_load_dword a35, off, s[0:3], 0 offset:188 ; 4-byte Folded Reload
	buffer_load_dword a36, off, s[0:3], 0 offset:192 ; 4-byte Folded Reload
	buffer_load_dword a37, off, s[0:3], 0 offset:196 ; 4-byte Folded Reload
	buffer_load_dword a38, off, s[0:3], 0 offset:200 ; 4-byte Folded Reload
	buffer_load_dword a39, off, s[0:3], 0 offset:204 ; 4-byte Folded Reload
	buffer_load_dword a40, off, s[0:3], 0 offset:208 ; 4-byte Folded Reload
	buffer_load_dword a41, off, s[0:3], 0 offset:212 ; 4-byte Folded Reload
	buffer_load_dword a42, off, s[0:3], 0 offset:216 ; 4-byte Folded Reload
	buffer_load_dword a43, off, s[0:3], 0 offset:220 ; 4-byte Folded Reload
	v_cndmask_b32_e64 v5, v5, v21, s[28:29]
	v_cndmask_b32_e64 v6, v6, v20, s[28:29]
	s_waitcnt vmcnt(22)
	v_accvgpr_read_b32 v23, a21
	v_accvgpr_read_b32 v22, a20
	buffer_load_dword a12, off, s[0:3], 0 offset:2016 ; 4-byte Folded Reload
	buffer_load_dword a13, off, s[0:3], 0 offset:2020 ; 4-byte Folded Reload
	;; [unrolled: 1-line block ×32, first 2 shown]
	v_cndmask_b32_e64 v5, v5, v23, s[30:31]
	v_cndmask_b32_e64 v5, v5, v43, s[34:35]
	;; [unrolled: 1-line block ×8, first 2 shown]
	s_waitcnt vmcnt(14)
	v_accvgpr_read_b32 v17, a29
	buffer_load_dword a12, off, s[0:3], 0 offset:1888 ; 4-byte Folded Reload
	buffer_load_dword a13, off, s[0:3], 0 offset:1892 ; 4-byte Folded Reload
	;; [unrolled: 1-line block ×32, first 2 shown]
	v_cndmask_b32_e64 v9, v5, v17, s[40:41]
	v_cndmask_b32_e64 v5, v113, v109, s[8:9]
	;; [unrolled: 1-line block ×9, first 2 shown]
	buffer_load_dword v5, off, s[0:3], 0 offset:84
	s_waitcnt vmcnt(16)
	v_accvgpr_read_b32 v18, a28
	buffer_load_dword a12, off, s[0:3], 0 offset:352 ; 4-byte Folded Reload
	buffer_load_dword a13, off, s[0:3], 0 offset:356 ; 4-byte Folded Reload
	;; [unrolled: 1-line block ×32, first 2 shown]
	v_cndmask_b32_e64 v8, v6, v18, s[40:41]
	v_cndmask_b32_e64 v6, v112, v108, s[8:9]
	;; [unrolled: 1-line block ×9, first 2 shown]
	v_mul_f64 v[34:35], v[14:15], v[30:31]
	v_fmac_f64_e32 v[34:35], v[8:9], v[28:29]
	s_waitcnt vmcnt(32)
	v_cmp_eq_u32_e64 s[44:45], 8, v5
	v_cmp_eq_u32_e64 s[48:49], 6, v5
	v_cndmask_b32_e64 v13, v38, v34, s[48:49]
	v_cndmask_b32_e64 v19, v17, v35, s[44:45]
	;; [unrolled: 1-line block ×5, first 2 shown]
	v_cmp_eq_u32_e64 s[42:43], 3, v5
	v_cndmask_b32_e64 v45, v21, v35, s[42:43]
	v_cmp_eq_u32_e64 s[50:51], 5, v5
	v_cmp_eq_u32_e32 vcc, 4, v5
	v_cndmask_b32_e64 v14, v42, v34, s[50:51]
	v_cndmask_b32_e32 v42, v22, v34, vcc
	v_cndmask_b32_e64 v22, v118, v116, s[8:9]
	v_cndmask_b32_e64 v44, v20, v34, s[42:43]
	;; [unrolled: 1-line block ×6, first 2 shown]
	v_cndmask_b32_e32 v43, v23, v35, vcc
	v_cmp_eq_u32_e64 s[46:47], 7, v5
	v_cndmask_b32_e64 v6, v18, v34, s[44:45]
	v_cndmask_b32_e64 v9, v36, v34, s[46:47]
	;; [unrolled: 1-line block ×5, first 2 shown]
	v_cndmask_b32_e32 v63, v75, v25, vcc
	v_cndmask_b32_e64 v57, v110, v24, s[50:51]
	v_cndmask_b32_e32 v62, v74, v24, vcc
	v_cndmask_b32_e64 v40, v40, v24, s[42:43]
	v_cndmask_b32_e64 v41, v41, v25, s[42:43]
	s_waitcnt vmcnt(24)
	v_accvgpr_read_b32 v39, a19
	v_accvgpr_read_b32 v38, a18
	buffer_load_dword a12, off, s[0:3], 0 offset:608 ; 4-byte Folded Reload
	buffer_load_dword a13, off, s[0:3], 0 offset:612 ; 4-byte Folded Reload
	buffer_load_dword a14, off, s[0:3], 0 offset:616 ; 4-byte Folded Reload
	buffer_load_dword a15, off, s[0:3], 0 offset:620 ; 4-byte Folded Reload
	buffer_load_dword a16, off, s[0:3], 0 offset:624 ; 4-byte Folded Reload
	buffer_load_dword a17, off, s[0:3], 0 offset:628 ; 4-byte Folded Reload
	buffer_load_dword a18, off, s[0:3], 0 offset:632 ; 4-byte Folded Reload
	buffer_load_dword a19, off, s[0:3], 0 offset:636 ; 4-byte Folded Reload
	buffer_load_dword a20, off, s[0:3], 0 offset:640 ; 4-byte Folded Reload
	buffer_load_dword a21, off, s[0:3], 0 offset:644 ; 4-byte Folded Reload
	buffer_load_dword a22, off, s[0:3], 0 offset:648 ; 4-byte Folded Reload
	buffer_load_dword a23, off, s[0:3], 0 offset:652 ; 4-byte Folded Reload
	buffer_load_dword a24, off, s[0:3], 0 offset:656 ; 4-byte Folded Reload
	buffer_load_dword a25, off, s[0:3], 0 offset:660 ; 4-byte Folded Reload
	buffer_load_dword a26, off, s[0:3], 0 offset:664 ; 4-byte Folded Reload
	buffer_load_dword a27, off, s[0:3], 0 offset:668 ; 4-byte Folded Reload
	buffer_load_dword a28, off, s[0:3], 0 offset:672 ; 4-byte Folded Reload
	buffer_load_dword a29, off, s[0:3], 0 offset:676 ; 4-byte Folded Reload
	buffer_load_dword a30, off, s[0:3], 0 offset:680 ; 4-byte Folded Reload
	buffer_load_dword a31, off, s[0:3], 0 offset:684 ; 4-byte Folded Reload
	buffer_load_dword a32, off, s[0:3], 0 offset:688 ; 4-byte Folded Reload
	buffer_load_dword a33, off, s[0:3], 0 offset:692 ; 4-byte Folded Reload
	buffer_load_dword a34, off, s[0:3], 0 offset:696 ; 4-byte Folded Reload
	buffer_load_dword a35, off, s[0:3], 0 offset:700 ; 4-byte Folded Reload
	buffer_load_dword a36, off, s[0:3], 0 offset:704 ; 4-byte Folded Reload
	buffer_load_dword a37, off, s[0:3], 0 offset:708 ; 4-byte Folded Reload
	buffer_load_dword a38, off, s[0:3], 0 offset:712 ; 4-byte Folded Reload
	buffer_load_dword a39, off, s[0:3], 0 offset:716 ; 4-byte Folded Reload
	buffer_load_dword a40, off, s[0:3], 0 offset:720 ; 4-byte Folded Reload
	buffer_load_dword a41, off, s[0:3], 0 offset:724 ; 4-byte Folded Reload
	buffer_load_dword a42, off, s[0:3], 0 offset:728 ; 4-byte Folded Reload
	buffer_load_dword a43, off, s[0:3], 0 offset:732 ; 4-byte Folded Reload
	v_cndmask_b32_e64 v8, v8, v39, s[28:29]
	v_cndmask_b32_e64 v22, v22, v38, s[12:13]
	;; [unrolled: 1-line block ×3, first 2 shown]
	s_waitcnt vmcnt(22)
	v_accvgpr_read_b32 v51, a21
	v_accvgpr_read_b32 v50, a20
	buffer_load_dword a0, off, s[0:3], 0 offset:1760 ; 4-byte Folded Reload
	buffer_load_dword a1, off, s[0:3], 0 offset:1764 ; 4-byte Folded Reload
	;; [unrolled: 1-line block ×32, first 2 shown]
	v_cndmask_b32_e64 v8, v8, v51, s[30:31]
	v_cndmask_b32_e64 v8, v8, v55, s[34:35]
	;; [unrolled: 1-line block ×4, first 2 shown]
	s_waitcnt vmcnt(18)
	v_accvgpr_read_b32 v53, a13
	buffer_load_dword a0, off, s[0:3], 0 offset:1632 ; 4-byte Folded Reload
	buffer_load_dword a1, off, s[0:3], 0 offset:1636 ; 4-byte Folded Reload
	buffer_load_dword a2, off, s[0:3], 0 offset:1640 ; 4-byte Folded Reload
	buffer_load_dword a3, off, s[0:3], 0 offset:1644 ; 4-byte Folded Reload
	buffer_load_dword a4, off, s[0:3], 0 offset:1648 ; 4-byte Folded Reload
	buffer_load_dword a5, off, s[0:3], 0 offset:1652 ; 4-byte Folded Reload
	buffer_load_dword a6, off, s[0:3], 0 offset:1656 ; 4-byte Folded Reload
	buffer_load_dword a7, off, s[0:3], 0 offset:1660 ; 4-byte Folded Reload
	buffer_load_dword a8, off, s[0:3], 0 offset:1664 ; 4-byte Folded Reload
	buffer_load_dword a9, off, s[0:3], 0 offset:1668 ; 4-byte Folded Reload
	buffer_load_dword a10, off, s[0:3], 0 offset:1672 ; 4-byte Folded Reload
	buffer_load_dword a11, off, s[0:3], 0 offset:1676 ; 4-byte Folded Reload
	buffer_load_dword a12, off, s[0:3], 0 offset:1680 ; 4-byte Folded Reload
	buffer_load_dword a13, off, s[0:3], 0 offset:1684 ; 4-byte Folded Reload
	buffer_load_dword a14, off, s[0:3], 0 offset:1688 ; 4-byte Folded Reload
	buffer_load_dword a15, off, s[0:3], 0 offset:1692 ; 4-byte Folded Reload
	buffer_load_dword a16, off, s[0:3], 0 offset:1696 ; 4-byte Folded Reload
	buffer_load_dword a17, off, s[0:3], 0 offset:1700 ; 4-byte Folded Reload
	buffer_load_dword a18, off, s[0:3], 0 offset:1704 ; 4-byte Folded Reload
	buffer_load_dword a19, off, s[0:3], 0 offset:1708 ; 4-byte Folded Reload
	buffer_load_dword a20, off, s[0:3], 0 offset:1712 ; 4-byte Folded Reload
	buffer_load_dword a21, off, s[0:3], 0 offset:1716 ; 4-byte Folded Reload
	buffer_load_dword a22, off, s[0:3], 0 offset:1720 ; 4-byte Folded Reload
	buffer_load_dword a23, off, s[0:3], 0 offset:1724 ; 4-byte Folded Reload
	buffer_load_dword a24, off, s[0:3], 0 offset:1728 ; 4-byte Folded Reload
	buffer_load_dword a25, off, s[0:3], 0 offset:1732 ; 4-byte Folded Reload
	buffer_load_dword a26, off, s[0:3], 0 offset:1736 ; 4-byte Folded Reload
	buffer_load_dword a27, off, s[0:3], 0 offset:1740 ; 4-byte Folded Reload
	buffer_load_dword a28, off, s[0:3], 0 offset:1744 ; 4-byte Folded Reload
	buffer_load_dword a29, off, s[0:3], 0 offset:1748 ; 4-byte Folded Reload
	buffer_load_dword a30, off, s[0:3], 0 offset:1752 ; 4-byte Folded Reload
	buffer_load_dword a31, off, s[0:3], 0 offset:1756 ; 4-byte Folded Reload
	v_cndmask_b32_e64 v8, v8, v53, s[36:37]
	s_waitcnt vmcnt(16)
	v_accvgpr_read_b32 v49, a15
	buffer_load_dword a0, off, s[0:3], 0 offset:1504 ; 4-byte Folded Reload
	buffer_load_dword a1, off, s[0:3], 0 offset:1508 ; 4-byte Folded Reload
	buffer_load_dword a2, off, s[0:3], 0 offset:1512 ; 4-byte Folded Reload
	buffer_load_dword a3, off, s[0:3], 0 offset:1516 ; 4-byte Folded Reload
	buffer_load_dword a4, off, s[0:3], 0 offset:1520 ; 4-byte Folded Reload
	buffer_load_dword a5, off, s[0:3], 0 offset:1524 ; 4-byte Folded Reload
	buffer_load_dword a6, off, s[0:3], 0 offset:1528 ; 4-byte Folded Reload
	buffer_load_dword a7, off, s[0:3], 0 offset:1532 ; 4-byte Folded Reload
	buffer_load_dword a8, off, s[0:3], 0 offset:1536 ; 4-byte Folded Reload
	buffer_load_dword a9, off, s[0:3], 0 offset:1540 ; 4-byte Folded Reload
	buffer_load_dword a10, off, s[0:3], 0 offset:1544 ; 4-byte Folded Reload
	buffer_load_dword a11, off, s[0:3], 0 offset:1548 ; 4-byte Folded Reload
	buffer_load_dword a12, off, s[0:3], 0 offset:1552 ; 4-byte Folded Reload
	buffer_load_dword a13, off, s[0:3], 0 offset:1556 ; 4-byte Folded Reload
	buffer_load_dword a14, off, s[0:3], 0 offset:1560 ; 4-byte Folded Reload
	buffer_load_dword a15, off, s[0:3], 0 offset:1564 ; 4-byte Folded Reload
	buffer_load_dword a16, off, s[0:3], 0 offset:1568 ; 4-byte Folded Reload
	buffer_load_dword a17, off, s[0:3], 0 offset:1572 ; 4-byte Folded Reload
	buffer_load_dword a18, off, s[0:3], 0 offset:1576 ; 4-byte Folded Reload
	buffer_load_dword a19, off, s[0:3], 0 offset:1580 ; 4-byte Folded Reload
	buffer_load_dword a20, off, s[0:3], 0 offset:1584 ; 4-byte Folded Reload
	buffer_load_dword a21, off, s[0:3], 0 offset:1588 ; 4-byte Folded Reload
	buffer_load_dword a22, off, s[0:3], 0 offset:1592 ; 4-byte Folded Reload
	buffer_load_dword a23, off, s[0:3], 0 offset:1596 ; 4-byte Folded Reload
	buffer_load_dword a24, off, s[0:3], 0 offset:1600 ; 4-byte Folded Reload
	buffer_load_dword a25, off, s[0:3], 0 offset:1604 ; 4-byte Folded Reload
	buffer_load_dword a26, off, s[0:3], 0 offset:1608 ; 4-byte Folded Reload
	buffer_load_dword a27, off, s[0:3], 0 offset:1612 ; 4-byte Folded Reload
	buffer_load_dword a28, off, s[0:3], 0 offset:1616 ; 4-byte Folded Reload
	buffer_load_dword a29, off, s[0:3], 0 offset:1620 ; 4-byte Folded Reload
	buffer_load_dword a30, off, s[0:3], 0 offset:1624 ; 4-byte Folded Reload
	buffer_load_dword a31, off, s[0:3], 0 offset:1628 ; 4-byte Folded Reload
	v_cndmask_b32_e64 v8, v8, v49, s[38:39]
	;; [unrolled: 35-line block ×3, first 2 shown]
	v_cndmask_b32_e64 v20, v20, v58, s[34:35]
	s_waitcnt vmcnt(19)
	v_accvgpr_read_b32 v52, a12
	buffer_load_dword a0, off, s[0:3], 0 offset:1248 ; 4-byte Folded Reload
	buffer_load_dword a1, off, s[0:3], 0 offset:1252 ; 4-byte Folded Reload
	;; [unrolled: 1-line block ×32, first 2 shown]
	v_cndmask_b32_e64 v22, v22, v52, s[18:19]
	v_cndmask_b32_e64 v20, v20, v52, s[36:37]
	s_waitcnt vmcnt(17)
	v_accvgpr_read_b32 v48, a14
	buffer_load_dword a0, off, s[0:3], 0 offset:1120 ; 4-byte Folded Reload
	buffer_load_dword a1, off, s[0:3], 0 offset:1124 ; 4-byte Folded Reload
	buffer_load_dword a2, off, s[0:3], 0 offset:1128 ; 4-byte Folded Reload
	buffer_load_dword a3, off, s[0:3], 0 offset:1132 ; 4-byte Folded Reload
	buffer_load_dword a4, off, s[0:3], 0 offset:1136 ; 4-byte Folded Reload
	buffer_load_dword a5, off, s[0:3], 0 offset:1140 ; 4-byte Folded Reload
	buffer_load_dword a6, off, s[0:3], 0 offset:1144 ; 4-byte Folded Reload
	buffer_load_dword a7, off, s[0:3], 0 offset:1148 ; 4-byte Folded Reload
	buffer_load_dword a8, off, s[0:3], 0 offset:1152 ; 4-byte Folded Reload
	buffer_load_dword a9, off, s[0:3], 0 offset:1156 ; 4-byte Folded Reload
	buffer_load_dword a10, off, s[0:3], 0 offset:1160 ; 4-byte Folded Reload
	buffer_load_dword a11, off, s[0:3], 0 offset:1164 ; 4-byte Folded Reload
	buffer_load_dword a12, off, s[0:3], 0 offset:1168 ; 4-byte Folded Reload
	buffer_load_dword a13, off, s[0:3], 0 offset:1172 ; 4-byte Folded Reload
	buffer_load_dword a14, off, s[0:3], 0 offset:1176 ; 4-byte Folded Reload
	buffer_load_dword a15, off, s[0:3], 0 offset:1180 ; 4-byte Folded Reload
	buffer_load_dword a16, off, s[0:3], 0 offset:1184 ; 4-byte Folded Reload
	buffer_load_dword a17, off, s[0:3], 0 offset:1188 ; 4-byte Folded Reload
	buffer_load_dword a18, off, s[0:3], 0 offset:1192 ; 4-byte Folded Reload
	buffer_load_dword a19, off, s[0:3], 0 offset:1196 ; 4-byte Folded Reload
	buffer_load_dword a20, off, s[0:3], 0 offset:1200 ; 4-byte Folded Reload
	buffer_load_dword a21, off, s[0:3], 0 offset:1204 ; 4-byte Folded Reload
	buffer_load_dword a22, off, s[0:3], 0 offset:1208 ; 4-byte Folded Reload
	buffer_load_dword a23, off, s[0:3], 0 offset:1212 ; 4-byte Folded Reload
	buffer_load_dword a24, off, s[0:3], 0 offset:1216 ; 4-byte Folded Reload
	buffer_load_dword a25, off, s[0:3], 0 offset:1220 ; 4-byte Folded Reload
	buffer_load_dword a26, off, s[0:3], 0 offset:1224 ; 4-byte Folded Reload
	buffer_load_dword a27, off, s[0:3], 0 offset:1228 ; 4-byte Folded Reload
	buffer_load_dword a28, off, s[0:3], 0 offset:1232 ; 4-byte Folded Reload
	buffer_load_dword a29, off, s[0:3], 0 offset:1236 ; 4-byte Folded Reload
	buffer_load_dword a30, off, s[0:3], 0 offset:1240 ; 4-byte Folded Reload
	buffer_load_dword a31, off, s[0:3], 0 offset:1244 ; 4-byte Folded Reload
	v_cndmask_b32_e64 v22, v22, v48, s[20:21]
	v_cndmask_b32_e64 v20, v20, v48, s[38:39]
	;; [unrolled: 1-line block ×4, first 2 shown]
	s_waitcnt vmcnt(14)
	v_accvgpr_read_b32 v47, a17
	v_cndmask_b32_e64 v21, v8, v47, s[40:41]
	v_cndmask_b32_e64 v8, v119, v117, s[8:9]
	;; [unrolled: 1-line block ×13, first 2 shown]
	v_mul_f64 v[36:37], v[22:23], v[30:31]
	v_cndmask_b32_e64 v8, v8, v73, s[16:17]
	v_fmac_f64_e32 v[36:37], v[20:21], v[28:29]
	v_cndmask_b32_e64 v8, v8, v71, s[18:19]
	v_cndmask_b32_e64 v22, v48, v36, s[46:47]
	v_cndmask_b32_e64 v48, v53, v37, s[48:49]
	v_cndmask_b32_e64 v53, v39, v37, s[42:43]
	v_cndmask_b32_e64 v8, v8, v69, s[20:21]
	v_accvgpr_read_b32 v39, a61
	v_cndmask_b32_e64 v27, v8, v39, s[22:23]
	v_mul_f64 v[26:27], v[26:27], v[30:31]
	v_cndmask_b32_e64 v8, v33, v251, s[24:25]
	v_cndmask_b32_e64 v30, v32, v250, s[24:25]
	;; [unrolled: 1-line block ×16, first 2 shown]
	v_fmac_f64_e32 v[26:27], v[30:31], v[28:29]
	v_mov_b32_e32 v28, 0
	v_lshl_add_u32 v8, v5, 2, v28
	buffer_load_dword v8, v8, s[0:3], 0 offen offset:40
	v_cndmask_b32_e64 v70, v73, v27, s[50:51]
	v_cndmask_b32_e64 v23, v46, v36, s[44:45]
	;; [unrolled: 1-line block ×13, first 2 shown]
	v_cmp_eq_u32_e64 s[8:9], 2, v5
	v_cmp_eq_u32_e64 s[44:45], 1, v5
	v_cmp_eq_u32_e64 s[46:47], 0, v5
	v_cndmask_b32_e64 v69, v71, v27, s[48:49]
	v_cndmask_b32_e64 v71, v106, v34, s[8:9]
	;; [unrolled: 1-line block ×13, first 2 shown]
	v_cmp_eq_u32_e64 s[8:9], 1, v4
	v_cndmask_b32_e64 v56, v146, v24, s[48:49]
	v_cndmask_b32_e64 v24, v89, v88, s[8:9]
	v_cmp_eq_u32_e64 s[10:11], 2, v4
	v_cmp_eq_u32_e64 s[12:13], 3, v4
	;; [unrolled: 1-line block ×7, first 2 shown]
	v_cndmask_b32_e64 v4, v86, v85, s[8:9]
	v_cndmask_b32_e64 v24, v24, v87, s[10:11]
	;; [unrolled: 1-line block ×14, first 2 shown]
	v_cmp_eq_u32_e64 s[24:25], 1, v12
	v_cndmask_b32_e64 v25, v24, v58, s[22:23]
	v_cndmask_b32_e64 v24, v4, v54, s[22:23]
	;; [unrolled: 1-line block ×3, first 2 shown]
	v_cmp_eq_u32_e64 s[26:27], 2, v12
	v_cndmask_b32_e64 v4, v4, v87, s[26:27]
	v_cmp_eq_u32_e64 s[28:29], 3, v12
	v_cndmask_b32_e64 v4, v4, v41, s[28:29]
	;; [unrolled: 2-line block ×7, first 2 shown]
	v_cndmask_b32_e64 v4, v86, v85, s[24:25]
	v_cndmask_b32_e64 v4, v4, v84, s[26:27]
	v_cndmask_b32_e64 v4, v4, v40, s[28:29]
	v_cndmask_b32_e64 v4, v4, v62, s[30:31]
	v_cndmask_b32_e64 v4, v4, v57, s[34:35]
	v_cndmask_b32_e64 v4, v4, v56, s[36:37]
	v_cndmask_b32_e64 v4, v4, v55, s[38:39]
	v_cndmask_b32_e64 v30, v4, v54, s[40:41]
	s_waitcnt vmcnt(0)
	v_lshl_add_u32 v28, v8, 2, v28
	buffer_load_dword v73, v28, s[0:3], 0 offen offset:40
	v_cndmask_b32_e64 v72, v108, v34, s[44:45]
	v_cndmask_b32_e64 v74, v112, v34, s[46:47]
	;; [unrolled: 1-line block ×4, first 2 shown]
	v_add_f64 v[28:29], -v[24:25], 0
	v_add_f64 v[34:35], v[30:31], -v[24:25]
	v_cndmask_b32_e64 v21, v52, v36, s[48:49]
	v_cndmask_b32_e32 v50, v50, v36, vcc
	v_cndmask_b32_e32 v51, v51, v37, vcc
	v_cndmask_b32_e64 v52, v38, v36, s[42:43]
	v_cndmask_b32_e64 v79, v116, v36, s[44:45]
	;; [unrolled: 1-line block ×7, first 2 shown]
	v_div_scale_f64 v[36:37], s[42:43], v[34:35], v[34:35], v[28:29]
	v_rcp_f64_e32 v[38:39], v[36:37]
	v_cndmask_b32_e64 v65, v184, v26, s[48:49]
	v_cndmask_b32_e64 v66, v226, v26, s[50:51]
	v_cndmask_b32_e32 v90, v132, v26, vcc
	v_cndmask_b32_e64 v93, v250, v26, s[44:45]
	v_cndmask_b32_e64 v94, v32, v26, s[46:47]
	v_cndmask_b32_e32 v95, v133, v27, vcc
	v_cndmask_b32_e64 v4, v251, v27, s[44:45]
	v_cndmask_b32_e64 v100, v33, v27, s[46:47]
	v_fma_f64 v[26:27], -v[36:37], v[38:39], 1.0
	v_fmac_f64_e32 v[38:39], v[38:39], v[26:27]
	v_fma_f64 v[26:27], -v[36:37], v[38:39], 1.0
	v_fmac_f64_e32 v[38:39], v[38:39], v[26:27]
	v_div_scale_f64 v[26:27], vcc, v[28:29], v[34:35], v[28:29]
	v_mul_f64 v[32:33], v[26:27], v[38:39]
	v_fma_f64 v[26:27], -v[36:37], v[32:33], v[26:27]
	v_cmp_eq_u32_e64 s[42:43], 3, v8
	s_nop 0
	v_div_fmas_f64 v[26:27], v[26:27], v[38:39], v[32:33]
	v_cndmask_b32_e64 v32, v77, v76, s[8:9]
	v_div_fixup_f64 v[26:27], v[26:27], v[34:35], v[28:29]
	v_cndmask_b32_e64 v28, v77, v76, s[24:25]
	v_cndmask_b32_e64 v32, v32, v75, s[10:11]
	;; [unrolled: 1-line block ×30, first 2 shown]
	v_add_f64 v[34:35], -v[26:27], 1.0
	v_cndmask_b32_e64 v28, v28, v6, s[40:41]
	v_mul_f64 v[36:37], v[32:33], v[34:35]
	v_fmac_f64_e32 v[36:37], v[28:29], v[26:27]
	v_cmp_eq_u32_e32 vcc, 4, v8
	v_cndmask_b32_e32 v29, v43, v37, vcc
	v_cndmask_b32_e32 v28, v42, v36, vcc
	v_cmp_eq_u32_e64 s[44:45], 2, v8
	v_cmp_eq_u32_e64 s[46:47], 1, v8
	;; [unrolled: 1-line block ×3, first 2 shown]
	s_waitcnt vmcnt(0)
	buffer_store_dword v73, off, s[0:3], 0 offset:84
	buffer_store_dword v20, off, s[0:3], 0 offset:96 ; 4-byte Folded Spill
	s_nop 0
	buffer_store_dword v21, off, s[0:3], 0 offset:100 ; 4-byte Folded Spill
	buffer_store_dword v22, off, s[0:3], 0 offset:104 ; 4-byte Folded Spill
	;; [unrolled: 1-line block ×31, first 2 shown]
	v_cndmask_b32_e64 v29, v45, v37, s[42:43]
	v_cndmask_b32_e64 v28, v44, v36, s[42:43]
	buffer_store_dword v22, off, s[0:3], 0 offset:224 ; 4-byte Folded Spill
	s_nop 0
	buffer_store_dword v23, off, s[0:3], 0 offset:228 ; 4-byte Folded Spill
	buffer_store_dword v24, off, s[0:3], 0 offset:232 ; 4-byte Folded Spill
	;; [unrolled: 1-line block ×31, first 2 shown]
	v_cndmask_b32_e64 v32, v83, v82, s[8:9]
	v_cndmask_b32_e64 v28, v83, v82, s[24:25]
	;; [unrolled: 1-line block ×31, first 2 shown]
	v_mul_f64 v[24:25], v[24:25], v[34:35]
	v_cndmask_b32_e64 v28, v28, v23, s[40:41]
	v_mul_f64 v[38:39], v[32:33], v[34:35]
	v_fmac_f64_e32 v[24:25], v[30:31], v[26:27]
	v_cndmask_b32_e64 v30, v100, v4, s[8:9]
	v_fmac_f64_e32 v[38:39], v[28:29], v[26:27]
	v_cndmask_b32_e64 v28, v100, v4, s[24:25]
	v_cndmask_b32_e64 v30, v30, v97, s[10:11]
	;; [unrolled: 1-line block ×31, first 2 shown]
	v_mul_f64 v[30:31], v[30:31], v[34:35]
	v_fmac_f64_e32 v[30:31], v[28:29], v[26:27]
	v_cndmask_b32_e32 v27, v51, v39, vcc
	v_cndmask_b32_e32 v26, v50, v38, vcc
	v_cndmask_b32_e64 v107, v75, v37, s[44:45]
	v_cndmask_b32_e64 v106, v71, v36, s[44:45]
	;; [unrolled: 1-line block ×6, first 2 shown]
	buffer_store_dword v18, off, s[0:3], 0 offset:608 ; 4-byte Folded Spill
	s_nop 0
	buffer_store_dword v19, off, s[0:3], 0 offset:612 ; 4-byte Folded Spill
	buffer_store_dword v20, off, s[0:3], 0 offset:616 ; 4-byte Folded Spill
	;; [unrolled: 1-line block ×31, first 2 shown]
	v_cmp_eq_u32_e64 s[12:13], 8, v8
	v_cmp_eq_u32_e64 s[8:9], 6, v8
	;; [unrolled: 1-line block ×3, first 2 shown]
	v_cndmask_b32_e64 v27, v53, v39, s[42:43]
	v_cndmask_b32_e64 v26, v52, v38, s[42:43]
	buffer_store_dword v20, off, s[0:3], 0 offset:352 ; 4-byte Folded Spill
	s_nop 0
	buffer_store_dword v21, off, s[0:3], 0 offset:356 ; 4-byte Folded Spill
	buffer_store_dword v22, off, s[0:3], 0 offset:360 ; 4-byte Folded Spill
	;; [unrolled: 1-line block ×31, first 2 shown]
	v_cndmask_b32_e64 v33, v100, v31, s[48:49]
	v_cndmask_b32_e64 v32, v94, v30, s[48:49]
	;; [unrolled: 1-line block ×3, first 2 shown]
	v_cndmask_b32_e32 v75, v63, v25, vcc
	v_cndmask_b32_e32 v74, v62, v24, vcc
	v_cndmask_b32_e64 v41, v41, v25, s[42:43]
	v_cndmask_b32_e64 v40, v40, v24, s[42:43]
	;; [unrolled: 1-line block ×8, first 2 shown]
	v_cndmask_b32_e32 v133, v95, v31, vcc
	v_cndmask_b32_e32 v132, v90, v30, vcc
	v_cndmask_b32_e64 v99, v96, v31, s[42:43]
	v_cndmask_b32_e64 v98, v91, v30, s[42:43]
	;; [unrolled: 1-line block ×6, first 2 shown]
	v_cmp_eq_u32_e32 vcc, 7, v8
	buffer_store_dword v2, off, s[0:3], 0 offset:2016 ; 4-byte Folded Spill
	s_nop 0
	buffer_store_dword v3, off, s[0:3], 0 offset:2020 ; 4-byte Folded Spill
	buffer_store_dword v4, off, s[0:3], 0 offset:2024 ; 4-byte Folded Spill
	;; [unrolled: 1-line block ×31, first 2 shown]
	v_cndmask_b32_e64 v115, v81, v39, s[44:45]
	v_cndmask_b32_e64 v114, v78, v38, s[44:45]
	;; [unrolled: 1-line block ×7, first 2 shown]
	buffer_store_dword v10, off, s[0:3], 0 offset:1888 ; 4-byte Folded Spill
	s_nop 0
	buffer_store_dword v11, off, s[0:3], 0 offset:1892 ; 4-byte Folded Spill
	buffer_store_dword v12, off, s[0:3], 0 offset:1896 ; 4-byte Folded Spill
	;; [unrolled: 1-line block ×31, first 2 shown]
	v_cndmask_b32_e32 v19, v18, v37, vcc
	v_cndmask_b32_e32 v18, v9, v36, vcc
	v_cndmask_b32_e64 v17, v17, v37, s[8:9]
	v_accvgpr_write_b32 a232, v18
	v_accvgpr_write_b32 a165, v17
	v_cndmask_b32_e64 v18, v13, v36, s[8:9]
	v_cndmask_b32_e64 v13, v15, v37, s[10:11]
	v_cndmask_b32_e64 v14, v14, v36, s[10:11]
	v_cndmask_b32_e64 v17, v46, v39, s[12:13]
	v_accvgpr_write_b32 a105, v19
	v_accvgpr_write_b32 a198, v18
	;; [unrolled: 1-line block ×4, first 2 shown]
	buffer_store_dword v0, off, s[0:3], 0 offset:1120 ; 4-byte Folded Spill
	s_nop 0
	buffer_store_dword v1, off, s[0:3], 0 offset:1124 ; 4-byte Folded Spill
	buffer_store_dword v2, off, s[0:3], 0 offset:1128 ; 4-byte Folded Spill
	;; [unrolled: 1-line block ×31, first 2 shown]
	v_cndmask_b32_e32 v15, v47, v39, vcc
	v_cndmask_b32_e64 v18, v23, v38, s[12:13]
	v_accvgpr_write_b32 a44, v18
	buffer_store_dword v0, off, s[0:3], 0 offset:1632 ; 4-byte Folded Spill
	s_nop 0
	buffer_store_dword v1, off, s[0:3], 0 offset:1636 ; 4-byte Folded Spill
	buffer_store_dword v2, off, s[0:3], 0 offset:1640 ; 4-byte Folded Spill
	;; [unrolled: 1-line block ×31, first 2 shown]
	v_cndmask_b32_e32 v14, v22, v38, vcc
	buffer_store_dword v0, off, s[0:3], 0 offset:1248 ; 4-byte Folded Spill
	s_nop 0
	buffer_store_dword v1, off, s[0:3], 0 offset:1252 ; 4-byte Folded Spill
	buffer_store_dword v2, off, s[0:3], 0 offset:1256 ; 4-byte Folded Spill
	buffer_store_dword v3, off, s[0:3], 0 offset:1260 ; 4-byte Folded Spill
	buffer_store_dword v4, off, s[0:3], 0 offset:1264 ; 4-byte Folded Spill
	buffer_store_dword v5, off, s[0:3], 0 offset:1268 ; 4-byte Folded Spill
	buffer_store_dword v6, off, s[0:3], 0 offset:1272 ; 4-byte Folded Spill
	buffer_store_dword v7, off, s[0:3], 0 offset:1276 ; 4-byte Folded Spill
	buffer_store_dword v8, off, s[0:3], 0 offset:1280 ; 4-byte Folded Spill
	buffer_store_dword v9, off, s[0:3], 0 offset:1284 ; 4-byte Folded Spill
	buffer_store_dword v10, off, s[0:3], 0 offset:1288 ; 4-byte Folded Spill
	buffer_store_dword v11, off, s[0:3], 0 offset:1292 ; 4-byte Folded Spill
	buffer_store_dword v12, off, s[0:3], 0 offset:1296 ; 4-byte Folded Spill
	buffer_store_dword v13, off, s[0:3], 0 offset:1300 ; 4-byte Folded Spill
	buffer_store_dword v14, off, s[0:3], 0 offset:1304 ; 4-byte Folded Spill
	buffer_store_dword v15, off, s[0:3], 0 offset:1308 ; 4-byte Folded Spill
	buffer_store_dword v16, off, s[0:3], 0 offset:1312 ; 4-byte Folded Spill
	buffer_store_dword v17, off, s[0:3], 0 offset:1316 ; 4-byte Folded Spill
	buffer_store_dword v18, off, s[0:3], 0 offset:1320 ; 4-byte Folded Spill
	buffer_store_dword v19, off, s[0:3], 0 offset:1324 ; 4-byte Folded Spill
	buffer_store_dword v20, off, s[0:3], 0 offset:1328 ; 4-byte Folded Spill
	buffer_store_dword v21, off, s[0:3], 0 offset:1332 ; 4-byte Folded Spill
	buffer_store_dword v22, off, s[0:3], 0 offset:1336 ; 4-byte Folded Spill
	buffer_store_dword v23, off, s[0:3], 0 offset:1340 ; 4-byte Folded Spill
	buffer_store_dword v24, off, s[0:3], 0 offset:1344 ; 4-byte Folded Spill
	buffer_store_dword v25, off, s[0:3], 0 offset:1348 ; 4-byte Folded Spill
	buffer_store_dword v26, off, s[0:3], 0 offset:1352 ; 4-byte Folded Spill
	buffer_store_dword v27, off, s[0:3], 0 offset:1356 ; 4-byte Folded Spill
	buffer_store_dword v28, off, s[0:3], 0 offset:1360 ; 4-byte Folded Spill
	buffer_store_dword v29, off, s[0:3], 0 offset:1364 ; 4-byte Folded Spill
	buffer_store_dword v30, off, s[0:3], 0 offset:1368 ; 4-byte Folded Spill
	buffer_store_dword v31, off, s[0:3], 0 offset:1372 ; 4-byte Folded Spill
	v_cndmask_b32_e64 v13, v48, v39, s[8:9]
	buffer_store_dword v0, off, s[0:3], 0 offset:1760 ; 4-byte Folded Spill
	s_nop 0
	buffer_store_dword v1, off, s[0:3], 0 offset:1764 ; 4-byte Folded Spill
	buffer_store_dword v2, off, s[0:3], 0 offset:1768 ; 4-byte Folded Spill
	buffer_store_dword v3, off, s[0:3], 0 offset:1772 ; 4-byte Folded Spill
	buffer_store_dword v4, off, s[0:3], 0 offset:1776 ; 4-byte Folded Spill
	buffer_store_dword v5, off, s[0:3], 0 offset:1780 ; 4-byte Folded Spill
	buffer_store_dword v6, off, s[0:3], 0 offset:1784 ; 4-byte Folded Spill
	buffer_store_dword v7, off, s[0:3], 0 offset:1788 ; 4-byte Folded Spill
	buffer_store_dword v8, off, s[0:3], 0 offset:1792 ; 4-byte Folded Spill
	buffer_store_dword v9, off, s[0:3], 0 offset:1796 ; 4-byte Folded Spill
	buffer_store_dword v10, off, s[0:3], 0 offset:1800 ; 4-byte Folded Spill
	buffer_store_dword v11, off, s[0:3], 0 offset:1804 ; 4-byte Folded Spill
	buffer_store_dword v12, off, s[0:3], 0 offset:1808 ; 4-byte Folded Spill
	buffer_store_dword v13, off, s[0:3], 0 offset:1812 ; 4-byte Folded Spill
	buffer_store_dword v14, off, s[0:3], 0 offset:1816 ; 4-byte Folded Spill
	buffer_store_dword v15, off, s[0:3], 0 offset:1820 ; 4-byte Folded Spill
	buffer_store_dword v16, off, s[0:3], 0 offset:1824 ; 4-byte Folded Spill
	buffer_store_dword v17, off, s[0:3], 0 offset:1828 ; 4-byte Folded Spill
	buffer_store_dword v18, off, s[0:3], 0 offset:1832 ; 4-byte Folded Spill
	buffer_store_dword v19, off, s[0:3], 0 offset:1836 ; 4-byte Folded Spill
	buffer_store_dword v20, off, s[0:3], 0 offset:1840 ; 4-byte Folded Spill
	buffer_store_dword v21, off, s[0:3], 0 offset:1844 ; 4-byte Folded Spill
	buffer_store_dword v22, off, s[0:3], 0 offset:1848 ; 4-byte Folded Spill
	buffer_store_dword v23, off, s[0:3], 0 offset:1852 ; 4-byte Folded Spill
	buffer_store_dword v24, off, s[0:3], 0 offset:1856 ; 4-byte Folded Spill
	buffer_store_dword v25, off, s[0:3], 0 offset:1860 ; 4-byte Folded Spill
	buffer_store_dword v26, off, s[0:3], 0 offset:1864 ; 4-byte Folded Spill
	buffer_store_dword v27, off, s[0:3], 0 offset:1868 ; 4-byte Folded Spill
	buffer_store_dword v28, off, s[0:3], 0 offset:1872 ; 4-byte Folded Spill
	buffer_store_dword v29, off, s[0:3], 0 offset:1876 ; 4-byte Folded Spill
	buffer_store_dword v30, off, s[0:3], 0 offset:1880 ; 4-byte Folded Spill
	buffer_store_dword v31, off, s[0:3], 0 offset:1884 ; 4-byte Folded Spill
	v_cndmask_b32_e64 v14, v21, v38, s[8:9]
	;; [unrolled: 34-line block ×3, first 2 shown]
	v_accvgpr_write_b32 a11, v13
	v_cndmask_b32_e64 v14, v20, v38, s[10:11]
	buffer_store_dword v4, off, s[0:3], 0 offset:1504 ; 4-byte Folded Spill
	s_nop 0
	buffer_store_dword v5, off, s[0:3], 0 offset:1508 ; 4-byte Folded Spill
	buffer_store_dword v6, off, s[0:3], 0 offset:1512 ; 4-byte Folded Spill
	buffer_store_dword v7, off, s[0:3], 0 offset:1516 ; 4-byte Folded Spill
	buffer_store_dword v8, off, s[0:3], 0 offset:1520 ; 4-byte Folded Spill
	buffer_store_dword v9, off, s[0:3], 0 offset:1524 ; 4-byte Folded Spill
	buffer_store_dword v10, off, s[0:3], 0 offset:1528 ; 4-byte Folded Spill
	buffer_store_dword v11, off, s[0:3], 0 offset:1532 ; 4-byte Folded Spill
	buffer_store_dword v12, off, s[0:3], 0 offset:1536 ; 4-byte Folded Spill
	buffer_store_dword v13, off, s[0:3], 0 offset:1540 ; 4-byte Folded Spill
	buffer_store_dword v14, off, s[0:3], 0 offset:1544 ; 4-byte Folded Spill
	buffer_store_dword v15, off, s[0:3], 0 offset:1548 ; 4-byte Folded Spill
	buffer_store_dword v16, off, s[0:3], 0 offset:1552 ; 4-byte Folded Spill
	buffer_store_dword v17, off, s[0:3], 0 offset:1556 ; 4-byte Folded Spill
	buffer_store_dword v18, off, s[0:3], 0 offset:1560 ; 4-byte Folded Spill
	buffer_store_dword v19, off, s[0:3], 0 offset:1564 ; 4-byte Folded Spill
	buffer_store_dword v20, off, s[0:3], 0 offset:1568 ; 4-byte Folded Spill
	buffer_store_dword v21, off, s[0:3], 0 offset:1572 ; 4-byte Folded Spill
	buffer_store_dword v22, off, s[0:3], 0 offset:1576 ; 4-byte Folded Spill
	buffer_store_dword v23, off, s[0:3], 0 offset:1580 ; 4-byte Folded Spill
	buffer_store_dword v24, off, s[0:3], 0 offset:1584 ; 4-byte Folded Spill
	buffer_store_dword v25, off, s[0:3], 0 offset:1588 ; 4-byte Folded Spill
	buffer_store_dword v26, off, s[0:3], 0 offset:1592 ; 4-byte Folded Spill
	buffer_store_dword v27, off, s[0:3], 0 offset:1596 ; 4-byte Folded Spill
	buffer_store_dword v28, off, s[0:3], 0 offset:1600 ; 4-byte Folded Spill
	buffer_store_dword v29, off, s[0:3], 0 offset:1604 ; 4-byte Folded Spill
	buffer_store_dword v30, off, s[0:3], 0 offset:1608 ; 4-byte Folded Spill
	buffer_store_dword v31, off, s[0:3], 0 offset:1612 ; 4-byte Folded Spill
	buffer_store_dword v32, off, s[0:3], 0 offset:1616 ; 4-byte Folded Spill
	buffer_store_dword v33, off, s[0:3], 0 offset:1620 ; 4-byte Folded Spill
	buffer_store_dword v34, off, s[0:3], 0 offset:1624 ; 4-byte Folded Spill
	buffer_store_dword v35, off, s[0:3], 0 offset:1628 ; 4-byte Folded Spill
	v_cndmask_b32_e64 v17, v58, v25, s[12:13]
	buffer_store_dword v0, off, s[0:3], 0 offset:736 ; 4-byte Folded Spill
	s_nop 0
	buffer_store_dword v1, off, s[0:3], 0 offset:740 ; 4-byte Folded Spill
	buffer_store_dword v2, off, s[0:3], 0 offset:744 ; 4-byte Folded Spill
	buffer_store_dword v3, off, s[0:3], 0 offset:748 ; 4-byte Folded Spill
	buffer_store_dword v4, off, s[0:3], 0 offset:752 ; 4-byte Folded Spill
	buffer_store_dword v5, off, s[0:3], 0 offset:756 ; 4-byte Folded Spill
	buffer_store_dword v6, off, s[0:3], 0 offset:760 ; 4-byte Folded Spill
	buffer_store_dword v7, off, s[0:3], 0 offset:764 ; 4-byte Folded Spill
	buffer_store_dword v8, off, s[0:3], 0 offset:768 ; 4-byte Folded Spill
	buffer_store_dword v9, off, s[0:3], 0 offset:772 ; 4-byte Folded Spill
	buffer_store_dword v10, off, s[0:3], 0 offset:776 ; 4-byte Folded Spill
	buffer_store_dword v11, off, s[0:3], 0 offset:780 ; 4-byte Folded Spill
	buffer_store_dword v12, off, s[0:3], 0 offset:784 ; 4-byte Folded Spill
	buffer_store_dword v13, off, s[0:3], 0 offset:788 ; 4-byte Folded Spill
	buffer_store_dword v14, off, s[0:3], 0 offset:792 ; 4-byte Folded Spill
	buffer_store_dword v15, off, s[0:3], 0 offset:796 ; 4-byte Folded Spill
	buffer_store_dword v16, off, s[0:3], 0 offset:800 ; 4-byte Folded Spill
	buffer_store_dword v17, off, s[0:3], 0 offset:804 ; 4-byte Folded Spill
	buffer_store_dword v18, off, s[0:3], 0 offset:808 ; 4-byte Folded Spill
	buffer_store_dword v19, off, s[0:3], 0 offset:812 ; 4-byte Folded Spill
	buffer_store_dword v20, off, s[0:3], 0 offset:816 ; 4-byte Folded Spill
	buffer_store_dword v21, off, s[0:3], 0 offset:820 ; 4-byte Folded Spill
	buffer_store_dword v22, off, s[0:3], 0 offset:824 ; 4-byte Folded Spill
	buffer_store_dword v23, off, s[0:3], 0 offset:828 ; 4-byte Folded Spill
	buffer_store_dword v24, off, s[0:3], 0 offset:832 ; 4-byte Folded Spill
	buffer_store_dword v25, off, s[0:3], 0 offset:836 ; 4-byte Folded Spill
	buffer_store_dword v26, off, s[0:3], 0 offset:840 ; 4-byte Folded Spill
	buffer_store_dword v27, off, s[0:3], 0 offset:844 ; 4-byte Folded Spill
	buffer_store_dword v28, off, s[0:3], 0 offset:848 ; 4-byte Folded Spill
	buffer_store_dword v29, off, s[0:3], 0 offset:852 ; 4-byte Folded Spill
	buffer_store_dword v30, off, s[0:3], 0 offset:856 ; 4-byte Folded Spill
	buffer_store_dword v31, off, s[0:3], 0 offset:860 ; 4-byte Folded Spill
	;; [unrolled: 34-line block ×3, first 2 shown]
	v_cndmask_b32_e32 v15, v59, v25, vcc
	buffer_store_dword v0, off, s[0:3], 0 offset:992 ; 4-byte Folded Spill
	s_nop 0
	buffer_store_dword v1, off, s[0:3], 0 offset:996 ; 4-byte Folded Spill
	buffer_store_dword v2, off, s[0:3], 0 offset:1000 ; 4-byte Folded Spill
	;; [unrolled: 1-line block ×31, first 2 shown]
	v_cndmask_b32_e32 v14, v55, v24, vcc
	buffer_store_dword v0, off, s[0:3], 0 offset:864 ; 4-byte Folded Spill
	s_nop 0
	buffer_store_dword v1, off, s[0:3], 0 offset:868 ; 4-byte Folded Spill
	buffer_store_dword v2, off, s[0:3], 0 offset:872 ; 4-byte Folded Spill
	;; [unrolled: 1-line block ×31, first 2 shown]
	v_cndmask_b32_e64 v13, v60, v25, s[8:9]
	v_accvgpr_write_b32 a139, v13
	v_cndmask_b32_e64 v13, v61, v25, s[10:11]
	v_accvgpr_write_b32 a151, v13
	v_cndmask_b32_e64 v13, v69, v31, s[8:9]
	v_cndmask_b32_e64 v17, v67, v31, s[12:13]
	v_cndmask_b32_e32 v15, v68, v31, vcc
	v_accvgpr_write_b32 a185, v13
	v_cndmask_b32_e64 v13, v70, v31, s[10:11]
	v_cndmask_b32_e64 v146, v56, v24, s[8:9]
	;; [unrolled: 1-line block ×3, first 2 shown]
	v_accvgpr_write_b32 a61, v17
	v_cndmask_b32_e64 v16, v16, v30, s[12:13]
	v_accvgpr_write_b32 a77, v15
	v_cndmask_b32_e32 v170, v64, v30, vcc
	v_cndmask_b32_e64 v184, v65, v30, s[8:9]
	v_accvgpr_write_b32 a89, v13
	v_cndmask_b32_e64 v226, v66, v30, s[10:11]
.LBB4_61:
	s_or_b64 exec, exec, s[56:57]
	buffer_store_dword v7, off, s[0:3], 0 offset:80
	s_mov_b64 s[20:21], exec
	s_and_b64 s[8:9], s[20:21], s[4:5]
	v_accvgpr_read_b32 v29, a185
	v_accvgpr_read_b32 v31, a89
	s_mov_b64 exec, s[8:9]
	s_cbranch_execz .LBB4_70
; %bb.62:
	s_mov_b64 s[22:23], 0
	s_branch .LBB4_64
.LBB4_63:                               ;   in Loop: Header=BB4_64 Depth=1
	s_or_b64 exec, exec, s[10:11]
	s_waitcnt vmcnt(0)
	v_cmp_gt_i32_e32 vcc, 0, v4
	s_or_b64 s[22:23], vcc, s[22:23]
	v_mov_b32_e32 v10, v4
	s_andn2_b64 exec, exec, s[22:23]
	s_cbranch_execz .LBB4_70
.LBB4_64:                               ; =>This Inner Loop Header: Depth=1
	buffer_load_dword v42, off, s[0:3], 0 offset:992 ; 4-byte Folded Reload
	buffer_load_dword v43, off, s[0:3], 0 offset:996 ; 4-byte Folded Reload
	;; [unrolled: 1-line block ×32, first 2 shown]
	v_cmp_eq_u32_e32 vcc, 1, v10
	v_cndmask_b32_e32 v4, v253, v249, vcc
	v_cmp_eq_u32_e64 s[8:9], 2, v10
	v_cndmask_b32_e64 v4, v4, v255, s[8:9]
	v_cmp_eq_u32_e64 s[10:11], 3, v10
	v_cndmask_b32_e64 v4, v4, v41, s[10:11]
	;; [unrolled: 2-line block ×3, first 2 shown]
	v_cmp_eq_u32_e64 s[14:15], 5, v10
	v_accvgpr_read_b32 v13, a151
	v_cndmask_b32_e64 v4, v4, v13, s[14:15]
	v_cmp_eq_u32_e64 s[16:17], 6, v10
	v_accvgpr_read_b32 v13, a139
	v_cndmask_b32_e64 v4, v4, v13, s[16:17]
	v_cmp_eq_u32_e64 s[18:19], 7, v10
	v_cndmask_b32_e32 v6, v252, v248, vcc
	v_cndmask_b32_e64 v6, v6, v254, s[8:9]
	v_cndmask_b32_e64 v6, v6, v40, s[10:11]
	v_cndmask_b32_e64 v6, v6, v74, s[12:13]
	v_cndmask_b32_e64 v6, v6, v110, s[14:15]
	v_cndmask_b32_e64 v6, v6, v146, s[16:17]
	v_cmp_eq_u32_e32 vcc, 8, v10
	s_mov_b64 s[8:9], 0
	s_waitcnt vmcnt(16)
	v_cndmask_b32_e64 v4, v4, v57, s[18:19]
	buffer_load_dword v42, off, s[0:3], 0 offset:864 ; 4-byte Folded Reload
	buffer_load_dword v43, off, s[0:3], 0 offset:868 ; 4-byte Folded Reload
	;; [unrolled: 1-line block ×32, first 2 shown]
	s_waitcnt vmcnt(17)
	v_cndmask_b32_e64 v6, v6, v56, s[18:19]
	buffer_load_dword v42, off, s[0:3], 0 offset:736 ; 4-byte Folded Reload
	buffer_load_dword v43, off, s[0:3], 0 offset:740 ; 4-byte Folded Reload
	;; [unrolled: 1-line block ×32, first 2 shown]
	s_waitcnt vmcnt(14)
	v_cndmask_b32_e32 v7, v4, v59, vcc
	buffer_load_dword v42, off, s[0:3], 0 offset:480 ; 4-byte Folded Reload
	buffer_load_dword v43, off, s[0:3], 0 offset:484 ; 4-byte Folded Reload
	;; [unrolled: 1-line block ×32, first 2 shown]
	s_waitcnt vmcnt(15)
	v_cndmask_b32_e32 v6, v6, v58, vcc
	v_cmp_ngt_f64_e32 vcc, 0, v[6:7]
	v_lshl_add_u32 v7, v10, 2, v208
	buffer_load_dword v4, v7, s[0:3], 0 offen
                                        ; implicit-def: $vgpr6
	s_and_saveexec_b64 s[10:11], vcc
	s_xor_b64 s[10:11], exec, s[10:11]
	s_cbranch_execz .LBB4_66
; %bb.65:                               ;   in Loop: Header=BB4_64 Depth=1
	buffer_load_dword v6, off, s[0:3], 0 offset:80
                                        ; implicit-def: $vgpr7
	s_waitcnt vmcnt(0)
	v_cmp_eq_u32_e32 vcc, -1, v6
	v_mov_b32_e32 v6, 0x50
	s_and_b64 s[8:9], vcc, exec
.LBB4_66:                               ;   in Loop: Header=BB4_64 Depth=1
	s_andn2_saveexec_b64 s[10:11], s[10:11]
	s_cbranch_execz .LBB4_68
; %bb.67:                               ;   in Loop: Header=BB4_64 Depth=1
	buffer_load_dword v9, off, s[0:3], 0 offset:84
	v_mov_b32_e32 v6, 0x54
	s_or_b64 s[8:9], s[8:9], exec
	s_waitcnt vmcnt(0)
	buffer_store_dword v9, v7, s[0:3], 0 offen
.LBB4_68:                               ;   in Loop: Header=BB4_64 Depth=1
	s_or_b64 exec, exec, s[10:11]
	s_mov_b64 s[10:11], exec
	s_and_b64 s[8:9], s[10:11], s[8:9]
	v_accvgpr_read_b32 v29, a185
	v_accvgpr_read_b32 v31, a89
	s_mov_b64 exec, s[8:9]
	s_cbranch_execz .LBB4_63
; %bb.69:                               ;   in Loop: Header=BB4_64 Depth=1
	buffer_store_dword v10, v6, s[0:3], 0 offen
	s_branch .LBB4_63
.LBB4_70:
	s_or_b64 exec, exec, s[20:21]
	s_and_saveexec_b64 s[8:9], s[6:7]
	s_cbranch_execz .LBB4_72
; %bb.71:
	v_cmp_gt_f64_e32 vcc, 0, v[0:1]
	v_mov_b32_e32 v0, 0
	v_cmp_gt_f64_e64 s[6:7], 0, v[2:3]
	s_and_b64 s[4:5], s[4:5], vcc
	v_lshl_add_u32 v1, v11, 2, v0
	s_or_b64 s[4:5], s[6:7], s[4:5]
	v_lshl_add_u32 v4, v5, 2, v0
	v_cndmask_b32_e64 v2, v12, -1, s[4:5]
	v_lshl_add_u32 v0, v8, 2, v0
	buffer_store_dword v5, v1, s[0:3], 0 offen offset:40
	buffer_store_dword v8, v4, s[0:3], 0 offen offset:40
	;; [unrolled: 1-line block ×3, first 2 shown]
.LBB4_72:
	s_or_b64 exec, exec, s[8:9]
	buffer_load_dword v0, off, s[0:3], 0 offset:44
	buffer_load_dword v1, off, s[0:3], 0 offset:48
	buffer_load_dword v2, off, s[0:3], 0 offset:52
	buffer_load_dword v3, off, s[0:3], 0 offset:56
	buffer_load_dword v4, off, s[0:3], 0 offset:60
	buffer_load_dword v5, off, s[0:3], 0 offset:40
	buffer_load_dword v37, off, s[0:3], 0 offset:84
	v_accvgpr_read_b32 v15, a77
	v_accvgpr_read_b32 v17, a61
	v_mov_b32_e32 v10, -1
	v_mov_b32_e32 v11, -1
	s_waitcnt vmcnt(6)
	buffer_store_dword v0, off, s[0:3], 0 offset:4
	s_waitcnt vmcnt(2)
	buffer_store_dword v5, off, s[0:3], 0
	buffer_store_dword v2, off, s[0:3], 0 offset:12
	buffer_store_dword v1, off, s[0:3], 0 offset:8
	;; [unrolled: 1-line block ×4, first 2 shown]
	buffer_load_dword v0, off, s[0:3], 0 offset:72
	s_nop 0
	buffer_load_dword v1, off, s[0:3], 0 offset:68
	buffer_load_dword v2, off, s[0:3], 0 offset:64
	v_pk_mov_b32 v[4:5], -1, -1
	v_pk_mov_b32 v[6:7], v[4:5], v[4:5] op_sel:[0,1]
	s_waitcnt vmcnt(1)
	buffer_store_dword v1, off, s[0:3], 0 offset:28
	s_waitcnt vmcnt(1)
	buffer_store_dword v2, off, s[0:3], 0 offset:24
	buffer_store_dword v0, off, s[0:3], 0 offset:32
	buffer_load_dword v36, off, s[0:3], 0 offset:80
	s_waitcnt vmcnt(0)
	buffer_store_dword v36, off, s[0:3], 0 offset:88
	buffer_store_dword v37, off, s[0:3], 0 offset:92
	v_cmp_eq_u32_e32 vcc, 1, v36
	v_cndmask_b32_e32 v0, v33, v251, vcc
	v_cmp_eq_u32_e64 s[4:5], 2, v36
	v_cndmask_b32_e32 v1, v32, v250, vcc
	v_cndmask_b32_e64 v0, v0, v205, s[4:5]
	v_cmp_eq_u32_e64 s[6:7], 3, v36
	v_cndmask_b32_e64 v1, v1, v204, s[4:5]
	v_cndmask_b32_e64 v0, v0, v99, s[6:7]
	v_cmp_eq_u32_e32 vcc, 4, v36
	v_cndmask_b32_e64 v1, v1, v98, s[6:7]
	v_cndmask_b32_e32 v0, v0, v133, vcc
	v_cmp_eq_u32_e64 s[4:5], 5, v36
	v_cndmask_b32_e32 v1, v1, v132, vcc
	v_cndmask_b32_e64 v0, v0, v31, s[4:5]
	v_cmp_eq_u32_e32 vcc, 6, v36
	v_cndmask_b32_e64 v1, v1, v226, s[4:5]
	v_cndmask_b32_e32 v0, v0, v29, vcc
	v_cmp_eq_u32_e64 s[4:5], 7, v36
	v_cndmask_b32_e32 v1, v1, v184, vcc
	v_cndmask_b32_e64 v0, v0, v15, s[4:5]
	v_cndmask_b32_e64 v1, v1, v170, s[4:5]
	v_cmp_eq_u32_e32 vcc, 8, v36
	v_cndmask_b32_e32 v3, v0, v17, vcc
	v_cndmask_b32_e32 v2, v1, v16, vcc
	v_cmp_lt_i32_e64 s[4:5], -1, v36
	v_pk_mov_b32 v[0:1], 0, 0
	s_and_saveexec_b64 s[14:15], s[4:5]
	s_cbranch_execz .LBB4_76
; %bb.73:
	s_mov_b64 s[16:17], 0
	v_mov_b32_e32 v10, -1
	v_mov_b32_e32 v5, v36
	v_mov_b32_e32 v4, -1
	v_mov_b32_e32 v6, -1
	;; [unrolled: 1-line block ×3, first 2 shown]
	v_pk_mov_b32 v[8:9], v[2:3], v[2:3] op_sel:[0,1]
	v_accvgpr_read_b32 v17, a61
	v_accvgpr_read_b32 v15, a77
.LBB4_74:                               ; =>This Inner Loop Header: Depth=1
	v_lshl_add_u32 v0, v5, 2, v208
	buffer_load_dword v7, v0, s[0:3], 0 offen
	s_waitcnt vmcnt(0)
	v_cmp_gt_i32_e32 vcc, 0, v7
	v_cndmask_b32_e32 v14, v7, v36, vcc
	v_cmp_eq_u32_e64 s[6:7], 1, v14
	v_cndmask_b32_e64 v0, v33, v251, s[6:7]
	v_cmp_eq_u32_e64 s[8:9], 2, v14
	v_cndmask_b32_e64 v1, v32, v250, s[6:7]
	v_cndmask_b32_e64 v0, v0, v205, s[8:9]
	v_cmp_eq_u32_e64 s[10:11], 3, v14
	v_cndmask_b32_e64 v1, v1, v204, s[8:9]
	;; [unrolled: 3-line block ×6, first 2 shown]
	v_cndmask_b32_e64 v0, v0, v15, s[8:9]
	v_cndmask_b32_e64 v1, v1, v170, s[8:9]
	v_cmp_eq_u32_e64 s[6:7], 8, v14
	v_cndmask_b32_e64 v13, v0, v17, s[6:7]
	v_cndmask_b32_e64 v12, v1, v16, s[6:7]
	v_pk_mov_b32 v[0:1], v[8:9], v[8:9] op_sel:[0,1]
	v_cmp_le_f64_e64 s[6:7], 0, v[0:1]
	v_cmp_gt_f64_e64 s[8:9], 0, v[0:1]
	v_cmp_gt_f64_e64 s[10:11], 0, v[12:13]
	v_cmp_le_f64_e64 s[12:13], 0, v[12:13]
	s_and_b64 s[6:7], s[6:7], s[10:11]
	s_and_b64 s[8:9], s[8:9], s[12:13]
	v_cndmask_b32_e64 v6, v6, v14, s[6:7]
	v_cndmask_b32_e64 v11, v11, v14, s[8:9]
	;; [unrolled: 1-line block ×4, first 2 shown]
	s_or_b64 s[16:17], vcc, s[16:17]
	v_mov_b32_e32 v5, v7
	v_pk_mov_b32 v[8:9], v[12:13], v[12:13] op_sel:[0,1]
	s_andn2_b64 exec, exec, s[16:17]
	s_cbranch_execnz .LBB4_74
; %bb.75:
	s_or_b64 exec, exec, s[16:17]
.LBB4_76:
	s_or_b64 exec, exec, s[14:15]
	v_cmp_lt_i32_e64 s[6:7], -1, v10
	v_mov_b32_e32 v12, -1
	v_mov_b32_e32 v5, -1
	;; [unrolled: 1-line block ×3, first 2 shown]
	s_and_saveexec_b64 s[56:57], s[6:7]
	s_cbranch_execz .LBB4_78
; %bb.77:
	buffer_load_dword a12, off, s[0:3], 0 offset:224 ; 4-byte Folded Reload
	buffer_load_dword a13, off, s[0:3], 0 offset:228 ; 4-byte Folded Reload
	;; [unrolled: 1-line block ×32, first 2 shown]
	v_cmp_eq_u32_e64 s[8:9], 1, v6
	v_cndmask_b32_e64 v5, v33, v251, s[8:9]
	v_cmp_eq_u32_e64 s[10:11], 2, v6
	v_cndmask_b32_e64 v5, v5, v205, s[10:11]
	;; [unrolled: 2-line block ×6, first 2 shown]
	v_cmp_eq_u32_e64 s[20:21], 7, v6
	v_accvgpr_read_b32 v73, a77
	v_cndmask_b32_e64 v5, v5, v73, s[20:21]
	v_cmp_eq_u32_e64 s[22:23], 8, v6
	v_accvgpr_read_b32 v71, a61
	v_cmp_eq_u32_e64 s[24:25], 1, v10
	v_cndmask_b32_e64 v6, v32, v250, s[8:9]
	v_cndmask_b32_e64 v7, v5, v71, s[22:23]
	v_cndmask_b32_e64 v5, v33, v251, s[24:25]
	v_cmp_eq_u32_e64 s[26:27], 2, v10
	v_cndmask_b32_e64 v8, v32, v250, s[24:25]
	v_cndmask_b32_e64 v6, v6, v204, s[10:11]
	v_cndmask_b32_e64 v5, v5, v205, s[26:27]
	;; [unrolled: 4-line block ×3, first 2 shown]
	v_cmp_eq_u32_e64 s[30:31], 4, v10
	v_cndmask_b32_e64 v8, v8, v98, s[28:29]
	v_mov_b32_e32 v79, v31
	v_cndmask_b32_e64 v6, v6, v132, s[14:15]
	v_cndmask_b32_e64 v5, v5, v133, s[30:31]
	v_cmp_eq_u32_e64 s[34:35], 5, v10
	v_cndmask_b32_e64 v8, v8, v132, s[30:31]
	v_mov_b32_e32 v77, v29
	v_cndmask_b32_e64 v6, v6, v226, s[16:17]
	v_cndmask_b32_e64 v5, v5, v79, s[34:35]
	v_cmp_eq_u32_e64 s[36:37], 6, v10
	v_cndmask_b32_e64 v8, v8, v226, s[34:35]
	v_cndmask_b32_e64 v6, v6, v184, s[18:19]
	;; [unrolled: 1-line block ×3, first 2 shown]
	v_cmp_eq_u32_e64 s[38:39], 7, v10
	v_cndmask_b32_e64 v8, v8, v184, s[36:37]
	v_cndmask_b32_e64 v6, v6, v170, s[20:21]
	;; [unrolled: 1-line block ×4, first 2 shown]
	v_cmp_eq_u32_e64 s[42:43], 8, v10
	v_cndmask_b32_e64 v6, v6, v16, s[22:23]
	v_cndmask_b32_e64 v9, v5, v71, s[42:43]
	;; [unrolled: 1-line block ×3, first 2 shown]
	v_add_f64 v[14:15], -v[6:7], 0
	v_add_f64 v[18:19], v[8:9], -v[6:7]
	v_div_scale_f64 v[20:21], s[40:41], v[18:19], v[18:19], v[14:15]
	v_rcp_f64_e32 v[22:23], v[20:21]
	v_accvgpr_read_b32 v57, a11
	v_cndmask_b32_e64 v5, v113, v109, s[24:25]
	v_cndmask_b32_e64 v13, v112, v108, s[24:25]
	v_fma_f64 v[24:25], -v[20:21], v[22:23], 1.0
	v_fmac_f64_e32 v[22:23], v[22:23], v[24:25]
	v_fma_f64 v[24:25], -v[20:21], v[22:23], 1.0
	v_fmac_f64_e32 v[22:23], v[22:23], v[24:25]
	v_div_scale_f64 v[24:25], vcc, v[14:15], v[18:19], v[14:15]
	v_mul_f64 v[26:27], v[24:25], v[22:23]
	v_fma_f64 v[20:21], -v[20:21], v[26:27], v[24:25]
	v_cndmask_b32_e64 v5, v5, v107, s[26:27]
	s_nop 0
	v_div_fmas_f64 v[20:21], v[20:21], v[22:23], v[26:27]
	v_div_fixup_f64 v[34:35], v[20:21], v[18:19], v[14:15]
	v_cndmask_b32_e64 v13, v13, v106, s[26:27]
	v_accvgpr_read_b32 v31, a117
	v_accvgpr_read_b32 v30, a210
	;; [unrolled: 1-line block ×6, first 2 shown]
	v_add_f64 v[38:39], -v[34:35], 1.0
	s_waitcnt vmcnt(24)
	v_accvgpr_read_b32 v25, a19
	v_accvgpr_read_b32 v24, a18
	buffer_load_dword a12, off, s[0:3], 0 offset:96 ; 4-byte Folded Reload
	buffer_load_dword a13, off, s[0:3], 0 offset:100 ; 4-byte Folded Reload
	;; [unrolled: 1-line block ×32, first 2 shown]
	v_cndmask_b32_e64 v5, v5, v25, s[28:29]
	v_cndmask_b32_e64 v13, v13, v24, s[28:29]
	v_cmp_eq_u32_e64 s[50:51], 5, v37
	v_cmp_eq_u32_e64 s[44:45], 8, v37
	;; [unrolled: 1-line block ×4, first 2 shown]
	v_cmp_eq_u32_e32 vcc, 4, v37
	v_accvgpr_read_b32 v65, a151
	v_accvgpr_read_b32 v63, a139
	v_cmp_eq_u32_e64 s[46:47], 7, v37
	v_mul_f64 v[6:7], v[6:7], v[38:39]
	v_fmac_f64_e32 v[6:7], v[8:9], v[34:35]
	v_cndmask_b32_e64 v95, v99, v7, s[40:41]
	v_cndmask_b32_e64 v90, v98, v6, s[40:41]
	v_cndmask_b32_e32 v94, v133, v7, vcc
	v_cndmask_b32_e64 v70, v71, v7, s[44:45]
	v_cndmask_b32_e64 v71, v73, v7, s[46:47]
	;; [unrolled: 1-line block ×7, first 2 shown]
	v_cndmask_b32_e32 v89, v132, v6, vcc
	v_cndmask_b32_e64 v69, v226, v6, s[50:51]
	s_waitcnt vmcnt(22)
	v_accvgpr_read_b32 v27, a21
	v_accvgpr_read_b32 v26, a20
	buffer_load_dword a12, off, s[0:3], 0 offset:2016 ; 4-byte Folded Reload
	buffer_load_dword a13, off, s[0:3], 0 offset:2020 ; 4-byte Folded Reload
	buffer_load_dword a14, off, s[0:3], 0 offset:2024 ; 4-byte Folded Reload
	buffer_load_dword a15, off, s[0:3], 0 offset:2028 ; 4-byte Folded Reload
	buffer_load_dword a16, off, s[0:3], 0 offset:2032 ; 4-byte Folded Reload
	buffer_load_dword a17, off, s[0:3], 0 offset:2036 ; 4-byte Folded Reload
	buffer_load_dword a18, off, s[0:3], 0 offset:2040 ; 4-byte Folded Reload
	buffer_load_dword a19, off, s[0:3], 0 offset:2044 ; 4-byte Folded Reload
	buffer_load_dword a20, off, s[0:3], 0 offset:2048 ; 4-byte Folded Reload
	buffer_load_dword a21, off, s[0:3], 0 offset:2052 ; 4-byte Folded Reload
	buffer_load_dword a22, off, s[0:3], 0 offset:2056 ; 4-byte Folded Reload
	buffer_load_dword a23, off, s[0:3], 0 offset:2060 ; 4-byte Folded Reload
	buffer_load_dword a24, off, s[0:3], 0 offset:2064 ; 4-byte Folded Reload
	buffer_load_dword a25, off, s[0:3], 0 offset:2068 ; 4-byte Folded Reload
	buffer_load_dword a26, off, s[0:3], 0 offset:2072 ; 4-byte Folded Reload
	buffer_load_dword a27, off, s[0:3], 0 offset:2076 ; 4-byte Folded Reload
	buffer_load_dword a28, off, s[0:3], 0 offset:2080 ; 4-byte Folded Reload
	buffer_load_dword a29, off, s[0:3], 0 offset:2084 ; 4-byte Folded Reload
	buffer_load_dword a30, off, s[0:3], 0 offset:2088 ; 4-byte Folded Reload
	buffer_load_dword a31, off, s[0:3], 0 offset:2092 ; 4-byte Folded Reload
	buffer_load_dword a32, off, s[0:3], 0 offset:2096 ; 4-byte Folded Reload
	buffer_load_dword a33, off, s[0:3], 0 offset:2100 ; 4-byte Folded Reload
	buffer_load_dword a34, off, s[0:3], 0 offset:2104 ; 4-byte Folded Reload
	buffer_load_dword a35, off, s[0:3], 0 offset:2108 ; 4-byte Folded Reload
	buffer_load_dword a36, off, s[0:3], 0 offset:2112 ; 4-byte Folded Reload
	buffer_load_dword a37, off, s[0:3], 0 offset:2116 ; 4-byte Folded Reload
	buffer_load_dword a38, off, s[0:3], 0 offset:2120 ; 4-byte Folded Reload
	buffer_load_dword a39, off, s[0:3], 0 offset:2124 ; 4-byte Folded Reload
	buffer_load_dword a40, off, s[0:3], 0 offset:2128 ; 4-byte Folded Reload
	buffer_load_dword a41, off, s[0:3], 0 offset:2132 ; 4-byte Folded Reload
	buffer_load_dword a42, off, s[0:3], 0 offset:2136 ; 4-byte Folded Reload
	buffer_load_dword a43, off, s[0:3], 0 offset:2140 ; 4-byte Folded Reload
	v_cndmask_b32_e64 v5, v5, v27, s[30:31]
	v_cndmask_b32_e64 v13, v13, v26, s[30:31]
	;; [unrolled: 1-line block ×8, first 2 shown]
	s_waitcnt vmcnt(14)
	v_accvgpr_read_b32 v21, a29
	buffer_load_dword a12, off, s[0:3], 0 offset:1888 ; 4-byte Folded Reload
	buffer_load_dword a13, off, s[0:3], 0 offset:1892 ; 4-byte Folded Reload
	;; [unrolled: 1-line block ×32, first 2 shown]
	v_cndmask_b32_e64 v15, v5, v21, s[42:43]
	v_cndmask_b32_e64 v5, v113, v109, s[8:9]
	;; [unrolled: 1-line block ×11, first 2 shown]
	s_waitcnt vmcnt(15)
	v_accvgpr_read_b32 v20, a28
	buffer_load_dword a12, off, s[0:3], 0 offset:352 ; 4-byte Folded Reload
	buffer_load_dword a13, off, s[0:3], 0 offset:356 ; 4-byte Folded Reload
	;; [unrolled: 1-line block ×32, first 2 shown]
	v_cndmask_b32_e64 v14, v13, v20, s[42:43]
	v_cndmask_b32_e64 v13, v112, v108, s[8:9]
	v_cndmask_b32_e64 v13, v13, v106, s[10:11]
	v_cndmask_b32_e64 v13, v13, v24, s[12:13]
	v_cndmask_b32_e64 v13, v13, v26, s[14:15]
	v_cndmask_b32_e64 v13, v13, v30, s[16:17]
	v_cndmask_b32_e64 v13, v13, v28, s[18:19]
	v_cndmask_b32_e64 v13, v13, v22, s[20:21]
	v_cndmask_b32_e64 v18, v13, v20, s[22:23]
	v_mul_f64 v[42:43], v[18:19], v[38:39]
	v_fmac_f64_e32 v[42:43], v[14:15], v[34:35]
	v_cndmask_b32_e64 v18, v30, v42, s[50:51]
	v_cndmask_b32_e64 v14, v20, v42, s[44:45]
	;; [unrolled: 1-line block ×7, first 2 shown]
	v_accvgpr_read_b32 v28, a44
	v_cndmask_b32_e64 v53, v24, v42, s[40:41]
	v_cndmask_b32_e32 v52, v27, v43, vcc
	v_cndmask_b32_e64 v19, v31, v43, s[50:51]
	v_cndmask_b32_e32 v31, v26, v42, vcc
	v_cndmask_b32_e64 v15, v22, v42, s[46:47]
	v_cndmask_b32_e64 v22, v21, v43, s[44:45]
	;; [unrolled: 1-line block ×3, first 2 shown]
	s_waitcnt vmcnt(24)
	v_accvgpr_read_b32 v47, a19
	v_accvgpr_read_b32 v46, a18
	buffer_load_dword a12, off, s[0:3], 0 offset:608 ; 4-byte Folded Reload
	buffer_load_dword a13, off, s[0:3], 0 offset:612 ; 4-byte Folded Reload
	;; [unrolled: 1-line block ×32, first 2 shown]
	v_cndmask_b32_e64 v5, v5, v47, s[28:29]
	v_cndmask_b32_e64 v13, v13, v46, s[28:29]
	s_waitcnt vmcnt(22)
	v_accvgpr_read_b32 v51, a21
	v_accvgpr_read_b32 v50, a20
	buffer_load_dword a0, off, s[0:3], 0 offset:1760 ; 4-byte Folded Reload
	buffer_load_dword a1, off, s[0:3], 0 offset:1764 ; 4-byte Folded Reload
	;; [unrolled: 1-line block ×32, first 2 shown]
	v_cndmask_b32_e64 v5, v5, v51, s[30:31]
	v_cndmask_b32_e64 v5, v5, v57, s[34:35]
	;; [unrolled: 1-line block ×3, first 2 shown]
	s_waitcnt vmcnt(18)
	v_accvgpr_read_b32 v55, a13
	buffer_load_dword a0, off, s[0:3], 0 offset:1632 ; 4-byte Folded Reload
	buffer_load_dword a1, off, s[0:3], 0 offset:1636 ; 4-byte Folded Reload
	buffer_load_dword a2, off, s[0:3], 0 offset:1640 ; 4-byte Folded Reload
	buffer_load_dword a3, off, s[0:3], 0 offset:1644 ; 4-byte Folded Reload
	buffer_load_dword a4, off, s[0:3], 0 offset:1648 ; 4-byte Folded Reload
	buffer_load_dword a5, off, s[0:3], 0 offset:1652 ; 4-byte Folded Reload
	buffer_load_dword a6, off, s[0:3], 0 offset:1656 ; 4-byte Folded Reload
	buffer_load_dword a7, off, s[0:3], 0 offset:1660 ; 4-byte Folded Reload
	buffer_load_dword a8, off, s[0:3], 0 offset:1664 ; 4-byte Folded Reload
	buffer_load_dword a9, off, s[0:3], 0 offset:1668 ; 4-byte Folded Reload
	buffer_load_dword a10, off, s[0:3], 0 offset:1672 ; 4-byte Folded Reload
	buffer_load_dword a11, off, s[0:3], 0 offset:1676 ; 4-byte Folded Reload
	buffer_load_dword a12, off, s[0:3], 0 offset:1680 ; 4-byte Folded Reload
	buffer_load_dword a13, off, s[0:3], 0 offset:1684 ; 4-byte Folded Reload
	buffer_load_dword a14, off, s[0:3], 0 offset:1688 ; 4-byte Folded Reload
	buffer_load_dword a15, off, s[0:3], 0 offset:1692 ; 4-byte Folded Reload
	buffer_load_dword a16, off, s[0:3], 0 offset:1696 ; 4-byte Folded Reload
	buffer_load_dword a17, off, s[0:3], 0 offset:1700 ; 4-byte Folded Reload
	buffer_load_dword a18, off, s[0:3], 0 offset:1704 ; 4-byte Folded Reload
	buffer_load_dword a19, off, s[0:3], 0 offset:1708 ; 4-byte Folded Reload
	buffer_load_dword a20, off, s[0:3], 0 offset:1712 ; 4-byte Folded Reload
	buffer_load_dword a21, off, s[0:3], 0 offset:1716 ; 4-byte Folded Reload
	buffer_load_dword a22, off, s[0:3], 0 offset:1720 ; 4-byte Folded Reload
	buffer_load_dword a23, off, s[0:3], 0 offset:1724 ; 4-byte Folded Reload
	buffer_load_dword a24, off, s[0:3], 0 offset:1728 ; 4-byte Folded Reload
	buffer_load_dword a25, off, s[0:3], 0 offset:1732 ; 4-byte Folded Reload
	buffer_load_dword a26, off, s[0:3], 0 offset:1736 ; 4-byte Folded Reload
	buffer_load_dword a27, off, s[0:3], 0 offset:1740 ; 4-byte Folded Reload
	buffer_load_dword a28, off, s[0:3], 0 offset:1744 ; 4-byte Folded Reload
	buffer_load_dword a29, off, s[0:3], 0 offset:1748 ; 4-byte Folded Reload
	buffer_load_dword a30, off, s[0:3], 0 offset:1752 ; 4-byte Folded Reload
	buffer_load_dword a31, off, s[0:3], 0 offset:1756 ; 4-byte Folded Reload
	v_cndmask_b32_e64 v5, v5, v55, s[36:37]
	s_waitcnt vmcnt(16)
	v_accvgpr_read_b32 v49, a15
	buffer_load_dword a0, off, s[0:3], 0 offset:1504 ; 4-byte Folded Reload
	buffer_load_dword a1, off, s[0:3], 0 offset:1508 ; 4-byte Folded Reload
	buffer_load_dword a2, off, s[0:3], 0 offset:1512 ; 4-byte Folded Reload
	buffer_load_dword a3, off, s[0:3], 0 offset:1516 ; 4-byte Folded Reload
	buffer_load_dword a4, off, s[0:3], 0 offset:1520 ; 4-byte Folded Reload
	buffer_load_dword a5, off, s[0:3], 0 offset:1524 ; 4-byte Folded Reload
	buffer_load_dword a6, off, s[0:3], 0 offset:1528 ; 4-byte Folded Reload
	buffer_load_dword a7, off, s[0:3], 0 offset:1532 ; 4-byte Folded Reload
	buffer_load_dword a8, off, s[0:3], 0 offset:1536 ; 4-byte Folded Reload
	buffer_load_dword a9, off, s[0:3], 0 offset:1540 ; 4-byte Folded Reload
	buffer_load_dword a10, off, s[0:3], 0 offset:1544 ; 4-byte Folded Reload
	buffer_load_dword a11, off, s[0:3], 0 offset:1548 ; 4-byte Folded Reload
	buffer_load_dword a12, off, s[0:3], 0 offset:1552 ; 4-byte Folded Reload
	buffer_load_dword a13, off, s[0:3], 0 offset:1556 ; 4-byte Folded Reload
	buffer_load_dword a14, off, s[0:3], 0 offset:1560 ; 4-byte Folded Reload
	buffer_load_dword a15, off, s[0:3], 0 offset:1564 ; 4-byte Folded Reload
	buffer_load_dword a16, off, s[0:3], 0 offset:1568 ; 4-byte Folded Reload
	buffer_load_dword a17, off, s[0:3], 0 offset:1572 ; 4-byte Folded Reload
	buffer_load_dword a18, off, s[0:3], 0 offset:1576 ; 4-byte Folded Reload
	buffer_load_dword a19, off, s[0:3], 0 offset:1580 ; 4-byte Folded Reload
	buffer_load_dword a20, off, s[0:3], 0 offset:1584 ; 4-byte Folded Reload
	buffer_load_dword a21, off, s[0:3], 0 offset:1588 ; 4-byte Folded Reload
	buffer_load_dword a22, off, s[0:3], 0 offset:1592 ; 4-byte Folded Reload
	buffer_load_dword a23, off, s[0:3], 0 offset:1596 ; 4-byte Folded Reload
	buffer_load_dword a24, off, s[0:3], 0 offset:1600 ; 4-byte Folded Reload
	buffer_load_dword a25, off, s[0:3], 0 offset:1604 ; 4-byte Folded Reload
	buffer_load_dword a26, off, s[0:3], 0 offset:1608 ; 4-byte Folded Reload
	buffer_load_dword a27, off, s[0:3], 0 offset:1612 ; 4-byte Folded Reload
	buffer_load_dword a28, off, s[0:3], 0 offset:1616 ; 4-byte Folded Reload
	buffer_load_dword a29, off, s[0:3], 0 offset:1620 ; 4-byte Folded Reload
	buffer_load_dword a30, off, s[0:3], 0 offset:1624 ; 4-byte Folded Reload
	buffer_load_dword a31, off, s[0:3], 0 offset:1628 ; 4-byte Folded Reload
	v_cndmask_b32_e64 v5, v5, v49, s[38:39]
	;; [unrolled: 35-line block ×5, first 2 shown]
	v_cndmask_b32_e64 v24, v13, v28, s[42:43]
	v_cndmask_b32_e64 v13, v118, v116, s[8:9]
	;; [unrolled: 1-line block ×15, first 2 shown]
	s_waitcnt vmcnt(14)
	v_accvgpr_read_b32 v29, a17
	buffer_load_dword a0, off, s[0:3], 0 offset:992 ; 4-byte Folded Reload
	buffer_load_dword a1, off, s[0:3], 0 offset:996 ; 4-byte Folded Reload
	;; [unrolled: 1-line block ×32, first 2 shown]
	v_cndmask_b32_e64 v25, v5, v29, s[42:43]
	v_cndmask_b32_e64 v5, v119, v117, s[8:9]
	;; [unrolled: 1-line block ×14, first 2 shown]
	v_mul_f64 v[44:45], v[26:27], v[38:39]
	v_cndmask_b32_e64 v5, v5, v63, s[36:37]
	v_fmac_f64_e32 v[44:45], v[24:25], v[34:35]
	v_cndmask_b32_e64 v23, v56, v44, s[50:51]
	v_cndmask_b32_e64 v56, v47, v45, s[40:41]
	;; [unrolled: 1-line block ×9, first 2 shown]
	v_cmp_eq_u32_e64 s[24:25], 1, v37
	v_cmp_eq_u32_e64 s[26:27], 0, v37
	v_cndmask_b32_e64 v97, v251, v7, s[24:25]
	v_cndmask_b32_e64 v100, v33, v7, s[26:27]
	v_cmp_eq_u32_e64 s[30:31], 1, v11
	v_cmp_eq_u32_e64 s[36:37], 2, v11
	v_cndmask_b32_e64 v27, v57, v45, s[50:51]
	v_cndmask_b32_e64 v92, v250, v6, s[24:25]
	;; [unrolled: 1-line block ×3, first 2 shown]
	v_cndmask_b32_e32 v50, v50, v44, vcc
	v_cndmask_b32_e32 v51, v51, v45, vcc
	v_cndmask_b32_e64 v76, v112, v42, s[26:27]
	v_cndmask_b32_e64 v78, v109, v43, s[24:25]
	;; [unrolled: 1-line block ×7, first 2 shown]
	s_waitcnt vmcnt(16)
	v_accvgpr_read_b32 v61, a15
	buffer_load_dword a0, off, s[0:3], 0 offset:864 ; 4-byte Folded Reload
	buffer_load_dword a1, off, s[0:3], 0 offset:868 ; 4-byte Folded Reload
	;; [unrolled: 1-line block ×32, first 2 shown]
	v_cndmask_b32_e64 v5, v5, v61, s[38:39]
	s_waitcnt vmcnt(17)
	v_accvgpr_read_b32 v60, a14
	buffer_load_dword a0, off, s[0:3], 0 offset:736 ; 4-byte Folded Reload
	buffer_load_dword a1, off, s[0:3], 0 offset:740 ; 4-byte Folded Reload
	;; [unrolled: 1-line block ×32, first 2 shown]
	v_cndmask_b32_e64 v13, v13, v60, s[38:39]
	v_cmp_eq_u32_e64 s[38:39], 3, v11
	s_waitcnt vmcnt(14)
	v_accvgpr_read_b32 v59, a17
	buffer_load_dword a0, off, s[0:3], 0 offset:480 ; 4-byte Folded Reload
	buffer_load_dword a1, off, s[0:3], 0 offset:484 ; 4-byte Folded Reload
	buffer_load_dword a2, off, s[0:3], 0 offset:488 ; 4-byte Folded Reload
	buffer_load_dword a3, off, s[0:3], 0 offset:492 ; 4-byte Folded Reload
	buffer_load_dword a4, off, s[0:3], 0 offset:496 ; 4-byte Folded Reload
	buffer_load_dword a5, off, s[0:3], 0 offset:500 ; 4-byte Folded Reload
	buffer_load_dword a6, off, s[0:3], 0 offset:504 ; 4-byte Folded Reload
	buffer_load_dword a7, off, s[0:3], 0 offset:508 ; 4-byte Folded Reload
	buffer_load_dword a8, off, s[0:3], 0 offset:512 ; 4-byte Folded Reload
	buffer_load_dword a9, off, s[0:3], 0 offset:516 ; 4-byte Folded Reload
	buffer_load_dword a10, off, s[0:3], 0 offset:520 ; 4-byte Folded Reload
	buffer_load_dword a11, off, s[0:3], 0 offset:524 ; 4-byte Folded Reload
	buffer_load_dword a12, off, s[0:3], 0 offset:528 ; 4-byte Folded Reload
	buffer_load_dword a13, off, s[0:3], 0 offset:532 ; 4-byte Folded Reload
	buffer_load_dword a14, off, s[0:3], 0 offset:536 ; 4-byte Folded Reload
	buffer_load_dword a15, off, s[0:3], 0 offset:540 ; 4-byte Folded Reload
	buffer_load_dword a16, off, s[0:3], 0 offset:544 ; 4-byte Folded Reload
	buffer_load_dword a17, off, s[0:3], 0 offset:548 ; 4-byte Folded Reload
	buffer_load_dword a18, off, s[0:3], 0 offset:552 ; 4-byte Folded Reload
	buffer_load_dword a19, off, s[0:3], 0 offset:556 ; 4-byte Folded Reload
	buffer_load_dword a20, off, s[0:3], 0 offset:560 ; 4-byte Folded Reload
	buffer_load_dword a21, off, s[0:3], 0 offset:564 ; 4-byte Folded Reload
	buffer_load_dword a22, off, s[0:3], 0 offset:568 ; 4-byte Folded Reload
	buffer_load_dword a23, off, s[0:3], 0 offset:572 ; 4-byte Folded Reload
	buffer_load_dword a24, off, s[0:3], 0 offset:576 ; 4-byte Folded Reload
	buffer_load_dword a25, off, s[0:3], 0 offset:580 ; 4-byte Folded Reload
	buffer_load_dword a26, off, s[0:3], 0 offset:584 ; 4-byte Folded Reload
	buffer_load_dword a27, off, s[0:3], 0 offset:588 ; 4-byte Folded Reload
	buffer_load_dword a28, off, s[0:3], 0 offset:592 ; 4-byte Folded Reload
	buffer_load_dword a29, off, s[0:3], 0 offset:596 ; 4-byte Folded Reload
	buffer_load_dword a30, off, s[0:3], 0 offset:600 ; 4-byte Folded Reload
	buffer_load_dword a31, off, s[0:3], 0 offset:604 ; 4-byte Folded Reload
	v_cndmask_b32_e64 v47, v5, v59, s[42:43]
	v_cndmask_b32_e64 v5, v253, v249, s[8:9]
	;; [unrolled: 1-line block ×9, first 2 shown]
	v_mov_b32_e32 v5, 0
	v_lshl_add_u32 v8, v37, 2, v5
	s_waitcnt vmcnt(15)
	v_accvgpr_read_b32 v58, a16
	v_cndmask_b32_e64 v46, v13, v58, s[42:43]
	v_cndmask_b32_e64 v13, v252, v248, s[8:9]
	;; [unrolled: 1-line block ×9, first 2 shown]
	buffer_load_dword v13, v8, s[0:3], 0 offen offset:40
	v_mul_f64 v[48:49], v[48:49], v[38:39]
	v_fmac_f64_e32 v[48:49], v[46:47], v[34:35]
	v_cndmask_b32_e64 v62, v65, v49, s[50:51]
	v_cndmask_b32_e64 v65, v40, v48, s[40:41]
	v_cmp_eq_u32_e64 s[8:9], 2, v37
	v_cndmask_b32_e64 v96, v205, v7, s[8:9]
	v_cndmask_b32_e64 v8, v100, v97, s[30:31]
	;; [unrolled: 1-line block ×5, first 2 shown]
	v_cmp_eq_u32_e64 s[40:41], 4, v11
	v_cndmask_b32_e64 v8, v8, v94, s[40:41]
	v_cmp_eq_u32_e64 s[42:43], 5, v11
	v_cndmask_b32_e64 v46, v58, v48, s[44:45]
	v_cndmask_b32_e64 v59, v59, v49, s[44:45]
	v_cndmask_b32_e64 v8, v8, v73, s[42:43]
	v_cmp_eq_u32_e64 s[44:45], 6, v11
	v_cndmask_b32_e64 v47, v60, v48, s[46:47]
	v_cndmask_b32_e64 v60, v61, v49, s[46:47]
	;; [unrolled: 4-line block ×3, first 2 shown]
	v_cndmask_b32_e32 v63, v74, v48, vcc
	v_cndmask_b32_e64 v74, v106, v42, s[8:9]
	v_cndmask_b32_e64 v77, v107, v43, s[8:9]
	;; [unrolled: 1-line block ×7, first 2 shown]
	v_cmp_eq_u32_e64 s[8:9], 1, v4
	v_cndmask_b32_e64 v8, v8, v71, s[46:47]
	v_cmp_eq_u32_e64 s[48:49], 8, v11
	v_cmp_eq_u32_e64 s[10:11], 2, v4
	;; [unrolled: 1-line block ×8, first 2 shown]
	v_cndmask_b32_e64 v4, v93, v92, s[8:9]
	v_cndmask_b32_e64 v9, v8, v70, s[48:49]
	;; [unrolled: 1-line block ×17, first 2 shown]
	v_cndmask_b32_e32 v64, v75, v49, vcc
	v_cndmask_b32_e64 v75, v108, v42, s[24:25]
	v_cndmask_b32_e64 v58, v110, v48, s[50:51]
	;; [unrolled: 1-line block ×6, first 2 shown]
	s_waitcnt vmcnt(0)
	v_lshl_add_u32 v5, v13, 2, v5
	buffer_load_dword v40, v5, s[0:3], 0 offen offset:40
	v_cndmask_b32_e64 v5, v100, v97, s[8:9]
	v_cndmask_b32_e64 v5, v5, v96, s[10:11]
	;; [unrolled: 1-line block ×8, first 2 shown]
	v_add_f64 v[6:7], -v[4:5], 0
	v_add_f64 v[32:33], v[8:9], -v[4:5]
	v_div_scale_f64 v[34:35], s[28:29], v[32:33], v[32:33], v[6:7]
	v_rcp_f64_e32 v[38:39], v[34:35]
	v_cmp_eq_u32_e64 s[24:25], 3, v13
	v_cmp_eq_u32_e64 s[26:27], 2, v13
	;; [unrolled: 1-line block ×4, first 2 shown]
	s_waitcnt vmcnt(0)
	buffer_store_dword v40, off, s[0:3], 0 offset:84
	v_fma_f64 v[40:41], -v[34:35], v[38:39], 1.0
	v_fmac_f64_e32 v[38:39], v[38:39], v[40:41]
	v_fma_f64 v[40:41], -v[34:35], v[38:39], 1.0
	v_fmac_f64_e32 v[38:39], v[38:39], v[40:41]
	v_div_scale_f64 v[40:41], vcc, v[6:7], v[32:33], v[6:7]
	v_mul_f64 v[42:43], v[40:41], v[38:39]
	v_fma_f64 v[34:35], -v[34:35], v[42:43], v[40:41]
	s_nop 1
	v_div_fmas_f64 v[34:35], v[34:35], v[38:39], v[42:43]
	v_div_fixup_f64 v[32:33], v[34:35], v[32:33], v[6:7]
	v_cndmask_b32_e64 v6, v79, v78, s[30:31]
	v_cndmask_b32_e64 v6, v6, v77, s[36:37]
	;; [unrolled: 1-line block ×32, first 2 shown]
	v_add_f64 v[38:39], -v[32:33], 1.0
	v_mul_f64 v[6:7], v[6:7], v[38:39]
	v_fmac_f64_e32 v[6:7], v[34:35], v[32:33]
	v_cmp_eq_u32_e32 vcc, 4, v13
	v_cndmask_b32_e32 v35, v52, v7, vcc
	v_cndmask_b32_e32 v34, v31, v6, vcc
	buffer_store_dword v26, off, s[0:3], 0 offset:96 ; 4-byte Folded Spill
	s_nop 0
	buffer_store_dword v27, off, s[0:3], 0 offset:100 ; 4-byte Folded Spill
	buffer_store_dword v28, off, s[0:3], 0 offset:104 ; 4-byte Folded Spill
	;; [unrolled: 1-line block ×31, first 2 shown]
	v_cndmask_b32_e64 v107, v77, v7, s[26:27]
	v_cndmask_b32_e64 v106, v74, v6, s[26:27]
	;; [unrolled: 1-line block ×8, first 2 shown]
	buffer_store_dword v28, off, s[0:3], 0 offset:224 ; 4-byte Folded Spill
	s_nop 0
	buffer_store_dword v29, off, s[0:3], 0 offset:228 ; 4-byte Folded Spill
	buffer_store_dword v30, off, s[0:3], 0 offset:232 ; 4-byte Folded Spill
	;; [unrolled: 1-line block ×31, first 2 shown]
	v_cndmask_b32_e64 v31, v85, v84, s[30:31]
	v_cndmask_b32_e64 v31, v31, v83, s[36:37]
	;; [unrolled: 1-line block ×38, first 2 shown]
	v_mul_f64 v[42:43], v[40:41], v[38:39]
	v_cndmask_b32_e64 v31, v31, v60, s[46:47]
	v_fmac_f64_e32 v[42:43], v[34:35], v[32:33]
	v_cndmask_b32_e64 v35, v31, v59, s[48:49]
	v_cndmask_b32_e64 v31, v48, v87, s[30:31]
	;; [unrolled: 1-line block ×25, first 2 shown]
	v_mul_f64 v[44:45], v[40:41], v[38:39]
	v_fmac_f64_e32 v[44:45], v[34:35], v[32:33]
	v_mul_f64 v[34:35], v[4:5], v[38:39]
	v_fmac_f64_e32 v[34:35], v[8:9], v[32:33]
	v_cndmask_b32_e32 v9, v51, v43, vcc
	v_cndmask_b32_e32 v8, v50, v42, vcc
	buffer_store_dword v0, off, s[0:3], 0 offset:608 ; 4-byte Folded Spill
	s_nop 0
	buffer_store_dword v1, off, s[0:3], 0 offset:612 ; 4-byte Folded Spill
	buffer_store_dword v2, off, s[0:3], 0 offset:616 ; 4-byte Folded Spill
	;; [unrolled: 1-line block ×31, first 2 shown]
	v_cndmask_b32_e64 v9, v56, v43, s[24:25]
	v_cndmask_b32_e64 v8, v55, v42, s[24:25]
	v_cndmask_b32_e64 v41, v66, v45, s[24:25]
	v_cndmask_b32_e64 v40, v65, v44, s[24:25]
	v_cndmask_b32_e64 v115, v83, v43, s[26:27]
	v_cndmask_b32_e64 v114, v80, v42, s[26:27]
	v_cndmask_b32_e64 v117, v84, v43, s[28:29]
	buffer_store_dword v2, off, s[0:3], 0 offset:352 ; 4-byte Folded Spill
	s_nop 0
	buffer_store_dword v3, off, s[0:3], 0 offset:356 ; 4-byte Folded Spill
	buffer_store_dword v4, off, s[0:3], 0 offset:360 ; 4-byte Folded Spill
	;; [unrolled: 1-line block ×31, first 2 shown]
	v_cndmask_b32_e64 v33, v100, v35, s[34:35]
	v_cndmask_b32_e64 v32, v93, v34, s[34:35]
	;; [unrolled: 1-line block ×5, first 2 shown]
	v_cndmask_b32_e32 v75, v64, v45, vcc
	v_cndmask_b32_e32 v74, v63, v44, vcc
	v_cndmask_b32_e64 v255, v88, v45, s[26:27]
	v_cndmask_b32_e64 v254, v86, v44, s[26:27]
	;; [unrolled: 1-line block ×6, first 2 shown]
	v_cndmask_b32_e32 v133, v94, v35, vcc
	v_cndmask_b32_e32 v132, v89, v34, vcc
	v_cndmask_b32_e64 v99, v95, v35, s[24:25]
	v_cndmask_b32_e64 v98, v90, v34, s[24:25]
	;; [unrolled: 1-line block ×6, first 2 shown]
	v_mov_b32_e32 v5, v37
	v_cmp_eq_u32_e64 s[12:13], 8, v13
	v_cndmask_b32_e64 v31, v22, v7, s[12:13]
	buffer_store_dword v14, off, s[0:3], 0 offset:2016 ; 4-byte Folded Spill
	s_nop 0
	buffer_store_dword v15, off, s[0:3], 0 offset:2020 ; 4-byte Folded Spill
	buffer_store_dword v16, off, s[0:3], 0 offset:2024 ; 4-byte Folded Spill
	;; [unrolled: 1-line block ×31, first 2 shown]
	v_cmp_eq_u32_e32 vcc, 7, v13
	v_cmp_eq_u32_e64 s[8:9], 6, v13
	v_cmp_eq_u32_e64 s[10:11], 5, v13
	v_cndmask_b32_e64 v22, v14, v6, s[12:13]
	buffer_store_dword v6, off, s[0:3], 0 offset:1888 ; 4-byte Folded Spill
	s_nop 0
	buffer_store_dword v7, off, s[0:3], 0 offset:1892 ; 4-byte Folded Spill
	buffer_store_dword v8, off, s[0:3], 0 offset:1896 ; 4-byte Folded Spill
	;; [unrolled: 1-line block ×31, first 2 shown]
	v_cndmask_b32_e64 v146, v57, v44, s[8:9]
	v_cndmask_b32_e64 v110, v58, v44, s[10:11]
	v_cndmask_b32_e32 v14, v15, v6, vcc
	v_accvgpr_write_b32 a232, v14
	v_cndmask_b32_e64 v15, v20, v7, s[8:9]
	v_cndmask_b32_e64 v14, v17, v6, s[8:9]
	v_cndmask_b32_e32 v21, v21, v7, vcc
	v_accvgpr_write_b32 a165, v15
	v_accvgpr_write_b32 a198, v14
	v_cndmask_b32_e64 v15, v19, v7, s[10:11]
	v_cndmask_b32_e64 v14, v18, v6, s[10:11]
	;; [unrolled: 1-line block ×3, first 2 shown]
	v_accvgpr_write_b32 a105, v21
	v_accvgpr_write_b32 a117, v15
	;; [unrolled: 1-line block ×3, first 2 shown]
	buffer_store_dword v0, off, s[0:3], 0 offset:1120 ; 4-byte Folded Spill
	s_nop 0
	buffer_store_dword v1, off, s[0:3], 0 offset:1124 ; 4-byte Folded Spill
	buffer_store_dword v2, off, s[0:3], 0 offset:1128 ; 4-byte Folded Spill
	;; [unrolled: 1-line block ×31, first 2 shown]
	v_cndmask_b32_e64 v18, v26, v42, s[12:13]
	v_cndmask_b32_e32 v15, v29, v43, vcc
	v_accvgpr_write_b32 a44, v18
	buffer_store_dword v0, off, s[0:3], 0 offset:1632 ; 4-byte Folded Spill
	s_nop 0
	buffer_store_dword v1, off, s[0:3], 0 offset:1636 ; 4-byte Folded Spill
	buffer_store_dword v2, off, s[0:3], 0 offset:1640 ; 4-byte Folded Spill
	;; [unrolled: 1-line block ×31, first 2 shown]
	v_cndmask_b32_e32 v14, v25, v42, vcc
	buffer_store_dword v0, off, s[0:3], 0 offset:1248 ; 4-byte Folded Spill
	s_nop 0
	buffer_store_dword v1, off, s[0:3], 0 offset:1252 ; 4-byte Folded Spill
	buffer_store_dword v2, off, s[0:3], 0 offset:1256 ; 4-byte Folded Spill
	buffer_store_dword v3, off, s[0:3], 0 offset:1260 ; 4-byte Folded Spill
	buffer_store_dword v4, off, s[0:3], 0 offset:1264 ; 4-byte Folded Spill
	buffer_store_dword v5, off, s[0:3], 0 offset:1268 ; 4-byte Folded Spill
	buffer_store_dword v6, off, s[0:3], 0 offset:1272 ; 4-byte Folded Spill
	buffer_store_dword v7, off, s[0:3], 0 offset:1276 ; 4-byte Folded Spill
	buffer_store_dword v8, off, s[0:3], 0 offset:1280 ; 4-byte Folded Spill
	buffer_store_dword v9, off, s[0:3], 0 offset:1284 ; 4-byte Folded Spill
	buffer_store_dword v10, off, s[0:3], 0 offset:1288 ; 4-byte Folded Spill
	buffer_store_dword v11, off, s[0:3], 0 offset:1292 ; 4-byte Folded Spill
	buffer_store_dword v12, off, s[0:3], 0 offset:1296 ; 4-byte Folded Spill
	buffer_store_dword v13, off, s[0:3], 0 offset:1300 ; 4-byte Folded Spill
	buffer_store_dword v14, off, s[0:3], 0 offset:1304 ; 4-byte Folded Spill
	buffer_store_dword v15, off, s[0:3], 0 offset:1308 ; 4-byte Folded Spill
	buffer_store_dword v16, off, s[0:3], 0 offset:1312 ; 4-byte Folded Spill
	buffer_store_dword v17, off, s[0:3], 0 offset:1316 ; 4-byte Folded Spill
	buffer_store_dword v18, off, s[0:3], 0 offset:1320 ; 4-byte Folded Spill
	buffer_store_dword v19, off, s[0:3], 0 offset:1324 ; 4-byte Folded Spill
	buffer_store_dword v20, off, s[0:3], 0 offset:1328 ; 4-byte Folded Spill
	buffer_store_dword v21, off, s[0:3], 0 offset:1332 ; 4-byte Folded Spill
	buffer_store_dword v22, off, s[0:3], 0 offset:1336 ; 4-byte Folded Spill
	buffer_store_dword v23, off, s[0:3], 0 offset:1340 ; 4-byte Folded Spill
	buffer_store_dword v24, off, s[0:3], 0 offset:1344 ; 4-byte Folded Spill
	buffer_store_dword v25, off, s[0:3], 0 offset:1348 ; 4-byte Folded Spill
	buffer_store_dword v26, off, s[0:3], 0 offset:1352 ; 4-byte Folded Spill
	buffer_store_dword v27, off, s[0:3], 0 offset:1356 ; 4-byte Folded Spill
	buffer_store_dword v28, off, s[0:3], 0 offset:1360 ; 4-byte Folded Spill
	buffer_store_dword v29, off, s[0:3], 0 offset:1364 ; 4-byte Folded Spill
	buffer_store_dword v30, off, s[0:3], 0 offset:1368 ; 4-byte Folded Spill
	buffer_store_dword v31, off, s[0:3], 0 offset:1372 ; 4-byte Folded Spill
	v_cndmask_b32_e64 v15, v28, v43, s[8:9]
	buffer_store_dword v2, off, s[0:3], 0 offset:1760 ; 4-byte Folded Spill
	s_nop 0
	buffer_store_dword v3, off, s[0:3], 0 offset:1764 ; 4-byte Folded Spill
	buffer_store_dword v4, off, s[0:3], 0 offset:1768 ; 4-byte Folded Spill
	buffer_store_dword v5, off, s[0:3], 0 offset:1772 ; 4-byte Folded Spill
	buffer_store_dword v6, off, s[0:3], 0 offset:1776 ; 4-byte Folded Spill
	buffer_store_dword v7, off, s[0:3], 0 offset:1780 ; 4-byte Folded Spill
	buffer_store_dword v8, off, s[0:3], 0 offset:1784 ; 4-byte Folded Spill
	buffer_store_dword v9, off, s[0:3], 0 offset:1788 ; 4-byte Folded Spill
	buffer_store_dword v10, off, s[0:3], 0 offset:1792 ; 4-byte Folded Spill
	buffer_store_dword v11, off, s[0:3], 0 offset:1796 ; 4-byte Folded Spill
	buffer_store_dword v12, off, s[0:3], 0 offset:1800 ; 4-byte Folded Spill
	buffer_store_dword v13, off, s[0:3], 0 offset:1804 ; 4-byte Folded Spill
	buffer_store_dword v14, off, s[0:3], 0 offset:1808 ; 4-byte Folded Spill
	buffer_store_dword v15, off, s[0:3], 0 offset:1812 ; 4-byte Folded Spill
	buffer_store_dword v16, off, s[0:3], 0 offset:1816 ; 4-byte Folded Spill
	buffer_store_dword v17, off, s[0:3], 0 offset:1820 ; 4-byte Folded Spill
	buffer_store_dword v18, off, s[0:3], 0 offset:1824 ; 4-byte Folded Spill
	buffer_store_dword v19, off, s[0:3], 0 offset:1828 ; 4-byte Folded Spill
	buffer_store_dword v20, off, s[0:3], 0 offset:1832 ; 4-byte Folded Spill
	buffer_store_dword v21, off, s[0:3], 0 offset:1836 ; 4-byte Folded Spill
	buffer_store_dword v22, off, s[0:3], 0 offset:1840 ; 4-byte Folded Spill
	buffer_store_dword v23, off, s[0:3], 0 offset:1844 ; 4-byte Folded Spill
	buffer_store_dword v24, off, s[0:3], 0 offset:1848 ; 4-byte Folded Spill
	buffer_store_dword v25, off, s[0:3], 0 offset:1852 ; 4-byte Folded Spill
	buffer_store_dword v26, off, s[0:3], 0 offset:1856 ; 4-byte Folded Spill
	buffer_store_dword v27, off, s[0:3], 0 offset:1860 ; 4-byte Folded Spill
	buffer_store_dword v28, off, s[0:3], 0 offset:1864 ; 4-byte Folded Spill
	buffer_store_dword v29, off, s[0:3], 0 offset:1868 ; 4-byte Folded Spill
	buffer_store_dword v30, off, s[0:3], 0 offset:1872 ; 4-byte Folded Spill
	buffer_store_dword v31, off, s[0:3], 0 offset:1876 ; 4-byte Folded Spill
	buffer_store_dword v32, off, s[0:3], 0 offset:1880 ; 4-byte Folded Spill
	buffer_store_dword v33, off, s[0:3], 0 offset:1884 ; 4-byte Folded Spill
	v_cndmask_b32_e64 v14, v24, v42, s[8:9]
	;; [unrolled: 34-line block ×3, first 2 shown]
	v_cndmask_b32_e64 v14, v23, v42, s[10:11]
	v_accvgpr_write_b32 a11, v15
	buffer_store_dword v4, off, s[0:3], 0 offset:1504 ; 4-byte Folded Spill
	s_nop 0
	buffer_store_dword v5, off, s[0:3], 0 offset:1508 ; 4-byte Folded Spill
	buffer_store_dword v6, off, s[0:3], 0 offset:1512 ; 4-byte Folded Spill
	;; [unrolled: 1-line block ×31, first 2 shown]
	v_cndmask_b32_e64 v17, v59, v45, s[12:13]
	buffer_store_dword v0, off, s[0:3], 0 offset:736 ; 4-byte Folded Spill
	s_nop 0
	buffer_store_dword v1, off, s[0:3], 0 offset:740 ; 4-byte Folded Spill
	buffer_store_dword v2, off, s[0:3], 0 offset:744 ; 4-byte Folded Spill
	;; [unrolled: 1-line block ×31, first 2 shown]
	v_cndmask_b32_e64 v18, v46, v44, s[12:13]
	buffer_store_dword v2, off, s[0:3], 0 offset:480 ; 4-byte Folded Spill
	s_nop 0
	buffer_store_dword v3, off, s[0:3], 0 offset:484 ; 4-byte Folded Spill
	buffer_store_dword v4, off, s[0:3], 0 offset:488 ; 4-byte Folded Spill
	;; [unrolled: 1-line block ×31, first 2 shown]
	v_cndmask_b32_e32 v15, v60, v45, vcc
	buffer_store_dword v0, off, s[0:3], 0 offset:992 ; 4-byte Folded Spill
	s_nop 0
	buffer_store_dword v1, off, s[0:3], 0 offset:996 ; 4-byte Folded Spill
	buffer_store_dword v2, off, s[0:3], 0 offset:1000 ; 4-byte Folded Spill
	;; [unrolled: 1-line block ×31, first 2 shown]
	v_cndmask_b32_e32 v14, v47, v44, vcc
	buffer_store_dword v0, off, s[0:3], 0 offset:864 ; 4-byte Folded Spill
	s_nop 0
	buffer_store_dword v1, off, s[0:3], 0 offset:868 ; 4-byte Folded Spill
	buffer_store_dword v2, off, s[0:3], 0 offset:872 ; 4-byte Folded Spill
	;; [unrolled: 1-line block ×31, first 2 shown]
	v_cndmask_b32_e64 v15, v61, v45, s[8:9]
	v_accvgpr_write_b32 a139, v15
	v_cndmask_b32_e64 v15, v62, v45, s[10:11]
	v_accvgpr_write_b32 a151, v15
	v_cndmask_b32_e64 v17, v70, v35, s[12:13]
	v_cndmask_b32_e32 v15, v71, v35, vcc
	v_accvgpr_write_b32 a61, v17
	v_accvgpr_write_b32 a77, v15
	v_cndmask_b32_e32 v170, v67, v34, vcc
	v_cndmask_b32_e64 v29, v72, v35, s[8:9]
	v_cndmask_b32_e64 v184, v68, v34, s[8:9]
	;; [unrolled: 1-line block ×5, first 2 shown]
.LBB4_78:
	s_or_b64 exec, exec, s[56:57]
	s_mov_b64 s[8:9], 0
	buffer_store_dword v12, off, s[0:3], 0 offset:80
	s_and_saveexec_b64 s[22:23], s[4:5]
	s_cbranch_execz .LBB4_88
; %bb.79:
	s_mov_b64 s[24:25], 0
	v_cmp_gt_f64_e32 vcc, 0, v[2:3]
	v_mov_b32_e32 v2, v36
	s_branch .LBB4_81
.LBB4_80:                               ;   in Loop: Header=BB4_81 Depth=1
	s_or_b64 exec, exec, s[8:9]
	s_waitcnt vmcnt(0)
	v_cmp_gt_i32_e64 s[8:9], 0, v3
	s_or_b64 s[24:25], s[8:9], s[24:25]
	v_mov_b32_e32 v2, v3
	s_andn2_b64 exec, exec, s[24:25]
	s_cbranch_execz .LBB4_87
.LBB4_81:                               ; =>This Inner Loop Header: Depth=1
	v_cmp_eq_u32_e64 s[8:9], 1, v2
	v_cndmask_b32_e64 v3, v33, v251, s[8:9]
	v_cmp_eq_u32_e64 s[10:11], 2, v2
	v_cndmask_b32_e64 v4, v32, v250, s[8:9]
	v_cndmask_b32_e64 v3, v3, v205, s[10:11]
	v_cmp_eq_u32_e64 s[12:13], 3, v2
	v_cndmask_b32_e64 v4, v4, v204, s[10:11]
	;; [unrolled: 3-line block ×5, first 2 shown]
	v_cndmask_b32_e64 v3, v3, v29, s[18:19]
	v_cmp_eq_u32_e64 s[20:21], 7, v2
	v_accvgpr_read_b32 v15, a77
	v_cndmask_b32_e64 v4, v4, v184, s[18:19]
	v_cndmask_b32_e64 v3, v3, v15, s[20:21]
	;; [unrolled: 1-line block ×3, first 2 shown]
	v_cmp_eq_u32_e64 s[8:9], 8, v2
	v_accvgpr_read_b32 v17, a61
	v_cndmask_b32_e64 v7, v3, v17, s[8:9]
	v_cndmask_b32_e64 v6, v4, v16, s[8:9]
	v_cmp_ngt_f64_e64 s[8:9], 0, v[6:7]
	v_lshl_add_u32 v6, v2, 2, v208
	buffer_load_dword v3, v6, s[0:3], 0 offen
	s_mov_b64 s[10:11], 0
                                        ; implicit-def: $vgpr4
	s_and_saveexec_b64 s[12:13], s[8:9]
	s_xor_b64 s[12:13], exec, s[12:13]
	s_cbranch_execnz .LBB4_84
; %bb.82:                               ;   in Loop: Header=BB4_81 Depth=1
	s_andn2_saveexec_b64 s[8:9], s[12:13]
	s_cbranch_execnz .LBB4_85
.LBB4_83:                               ;   in Loop: Header=BB4_81 Depth=1
	s_or_b64 exec, exec, s[8:9]
	s_and_saveexec_b64 s[8:9], s[10:11]
	s_cbranch_execz .LBB4_80
	s_branch .LBB4_86
.LBB4_84:                               ;   in Loop: Header=BB4_81 Depth=1
	buffer_load_dword v4, off, s[0:3], 0 offset:80
                                        ; implicit-def: $vgpr6
	s_waitcnt vmcnt(0)
	v_cmp_eq_u32_e64 s[8:9], -1, v4
	v_mov_b32_e32 v4, 0x50
	s_and_b64 s[10:11], s[8:9], exec
	s_andn2_saveexec_b64 s[8:9], s[12:13]
	s_cbranch_execz .LBB4_83
.LBB4_85:                               ;   in Loop: Header=BB4_81 Depth=1
	buffer_load_dword v7, off, s[0:3], 0 offset:84
	v_mov_b32_e32 v4, 0x54
	s_or_b64 s[10:11], s[10:11], exec
	s_waitcnt vmcnt(0)
	buffer_store_dword v7, v6, s[0:3], 0 offen
	s_or_b64 exec, exec, s[8:9]
	s_and_saveexec_b64 s[8:9], s[10:11]
	s_cbranch_execz .LBB4_80
.LBB4_86:                               ;   in Loop: Header=BB4_81 Depth=1
	buffer_store_dword v2, v4, s[0:3], 0 offen
	s_branch .LBB4_80
.LBB4_87:
	s_or_b64 exec, exec, s[24:25]
	s_and_b64 s[8:9], vcc, exec
.LBB4_88:
	s_or_b64 exec, exec, s[22:23]
	s_and_saveexec_b64 s[10:11], s[6:7]
	s_cbranch_execz .LBB4_90
; %bb.89:
	v_mov_b32_e32 v2, 0
	v_cmp_gt_f64_e32 vcc, 0, v[0:1]
	v_lshl_add_u32 v3, v10, 2, v2
	s_or_b64 s[6:7], vcc, s[8:9]
	v_lshl_add_u32 v4, v5, 2, v2
	v_cndmask_b32_e64 v0, v11, -1, s[6:7]
	v_lshl_add_u32 v1, v13, 2, v2
	buffer_store_dword v5, v3, s[0:3], 0 offen offset:40
	buffer_store_dword v13, v4, s[0:3], 0 offen offset:40
	buffer_store_dword v0, v1, s[0:3], 0 offen offset:40
.LBB4_90:
	s_or_b64 exec, exec, s[10:11]
	buffer_load_dword v10, off, s[0:3], 0 offset:80
	v_pk_mov_b32 v[8:9], 0, 0
	v_pk_mov_b32 v[6:7], v[8:9], v[8:9] op_sel:[0,1]
	v_pk_mov_b32 v[0:1], v[8:9], v[8:9] op_sel:[0,1]
	;; [unrolled: 1-line block ×4, first 2 shown]
	s_waitcnt vmcnt(0)
	v_cmp_lt_i32_e32 vcc, -1, v10
	s_and_saveexec_b64 s[20:21], vcc
	s_cbranch_execz .LBB4_96
; %bb.91:
	v_mov_b32_e32 v0, 0
	v_lshl_add_u32 v1, v10, 2, v0
	buffer_load_dword v18, v1, s[0:3], 0 offen offset:40
	v_pk_mov_b32 v[4:5], 0, 0
	v_pk_mov_b32 v[2:3], v[4:5], v[4:5] op_sel:[0,1]
	v_pk_mov_b32 v[6:7], v[4:5], v[4:5] op_sel:[0,1]
	s_waitcnt vmcnt(0)
	v_lshl_add_u32 v0, v18, 2, v0
	buffer_load_dword v17, v0, s[0:3], 0 offen offset:40
	v_pk_mov_b32 v[0:1], v[4:5], v[4:5] op_sel:[0,1]
	s_waitcnt vmcnt(0)
	v_cmp_lt_i32_e32 vcc, -1, v17
	s_and_saveexec_b64 s[22:23], vcc
	s_cbranch_execz .LBB4_95
; %bb.92:
	buffer_load_dword a12, off, s[0:3], 0 offset:224 ; 4-byte Folded Reload
	buffer_load_dword a13, off, s[0:3], 0 offset:228 ; 4-byte Folded Reload
	;; [unrolled: 1-line block ×32, first 2 shown]
	v_cmp_eq_u32_e32 vcc, 1, v10
	v_cndmask_b32_e32 v0, v113, v109, vcc
	v_cmp_eq_u32_e64 s[6:7], 2, v10
	v_cndmask_b32_e32 v1, v112, v108, vcc
	v_cndmask_b32_e64 v0, v0, v107, s[6:7]
	v_cmp_eq_u32_e64 s[8:9], 3, v10
	v_cndmask_b32_e64 v1, v1, v106, s[6:7]
	v_cmp_eq_u32_e64 s[10:11], 4, v10
	v_cmp_eq_u32_e64 s[12:13], 5, v10
	v_accvgpr_read_b32 v91, a117
	v_accvgpr_read_b32 v82, a210
	v_cmp_eq_u32_e64 s[14:15], 6, v10
	v_accvgpr_read_b32 v89, a165
	v_accvgpr_read_b32 v80, a198
	;; [unrolled: 3-line block ×4, first 2 shown]
	v_accvgpr_read_b32 v69, a151
	v_accvgpr_read_b32 v67, a139
	v_pk_mov_b32 v[6:7], 0, 0
	v_mov_b32_e32 v83, v31
	v_mov_b32_e32 v81, v29
	s_mov_b64 s[24:25], 0
	v_pk_mov_b32 v[2:3], v[6:7], v[6:7] op_sel:[0,1]
	v_pk_mov_b32 v[4:5], v[6:7], v[6:7] op_sel:[0,1]
	s_waitcnt vmcnt(24)
	v_accvgpr_read_b32 v57, a19
	v_accvgpr_read_b32 v56, a18
	buffer_load_dword a12, off, s[0:3], 0 offset:96 ; 4-byte Folded Reload
	buffer_load_dword a13, off, s[0:3], 0 offset:100 ; 4-byte Folded Reload
	;; [unrolled: 1-line block ×32, first 2 shown]
	v_cndmask_b32_e64 v0, v0, v57, s[8:9]
	v_cndmask_b32_e64 v1, v1, v56, s[8:9]
	s_waitcnt vmcnt(22)
	v_accvgpr_read_b32 v59, a21
	v_accvgpr_read_b32 v58, a20
	buffer_load_dword a12, off, s[0:3], 0 offset:2016 ; 4-byte Folded Reload
	buffer_load_dword a13, off, s[0:3], 0 offset:2020 ; 4-byte Folded Reload
	;; [unrolled: 1-line block ×32, first 2 shown]
	v_cndmask_b32_e64 v0, v0, v59, s[10:11]
	v_cndmask_b32_e64 v1, v1, v58, s[10:11]
	v_cndmask_b32_e64 v0, v0, v91, s[12:13]
	v_cndmask_b32_e64 v1, v1, v82, s[12:13]
	v_cndmask_b32_e64 v0, v0, v89, s[14:15]
	v_cndmask_b32_e64 v1, v1, v80, s[14:15]
	v_cndmask_b32_e64 v0, v0, v87, s[16:17]
	v_cndmask_b32_e64 v1, v1, v78, s[16:17]
	s_waitcnt vmcnt(14)
	v_accvgpr_read_b32 v85, a29
	buffer_load_dword a12, off, s[0:3], 0 offset:1888 ; 4-byte Folded Reload
	buffer_load_dword a13, off, s[0:3], 0 offset:1892 ; 4-byte Folded Reload
	buffer_load_dword a14, off, s[0:3], 0 offset:1896 ; 4-byte Folded Reload
	buffer_load_dword a15, off, s[0:3], 0 offset:1900 ; 4-byte Folded Reload
	buffer_load_dword a16, off, s[0:3], 0 offset:1904 ; 4-byte Folded Reload
	buffer_load_dword a17, off, s[0:3], 0 offset:1908 ; 4-byte Folded Reload
	buffer_load_dword a18, off, s[0:3], 0 offset:1912 ; 4-byte Folded Reload
	buffer_load_dword a19, off, s[0:3], 0 offset:1916 ; 4-byte Folded Reload
	buffer_load_dword a20, off, s[0:3], 0 offset:1920 ; 4-byte Folded Reload
	buffer_load_dword a21, off, s[0:3], 0 offset:1924 ; 4-byte Folded Reload
	buffer_load_dword a22, off, s[0:3], 0 offset:1928 ; 4-byte Folded Reload
	buffer_load_dword a23, off, s[0:3], 0 offset:1932 ; 4-byte Folded Reload
	buffer_load_dword a24, off, s[0:3], 0 offset:1936 ; 4-byte Folded Reload
	buffer_load_dword a25, off, s[0:3], 0 offset:1940 ; 4-byte Folded Reload
	buffer_load_dword a26, off, s[0:3], 0 offset:1944 ; 4-byte Folded Reload
	buffer_load_dword a27, off, s[0:3], 0 offset:1948 ; 4-byte Folded Reload
	buffer_load_dword a28, off, s[0:3], 0 offset:1952 ; 4-byte Folded Reload
	buffer_load_dword a29, off, s[0:3], 0 offset:1956 ; 4-byte Folded Reload
	buffer_load_dword a30, off, s[0:3], 0 offset:1960 ; 4-byte Folded Reload
	buffer_load_dword a31, off, s[0:3], 0 offset:1964 ; 4-byte Folded Reload
	buffer_load_dword a32, off, s[0:3], 0 offset:1968 ; 4-byte Folded Reload
	buffer_load_dword a33, off, s[0:3], 0 offset:1972 ; 4-byte Folded Reload
	buffer_load_dword a34, off, s[0:3], 0 offset:1976 ; 4-byte Folded Reload
	buffer_load_dword a35, off, s[0:3], 0 offset:1980 ; 4-byte Folded Reload
	buffer_load_dword a36, off, s[0:3], 0 offset:1984 ; 4-byte Folded Reload
	buffer_load_dword a37, off, s[0:3], 0 offset:1988 ; 4-byte Folded Reload
	buffer_load_dword a38, off, s[0:3], 0 offset:1992 ; 4-byte Folded Reload
	buffer_load_dword a39, off, s[0:3], 0 offset:1996 ; 4-byte Folded Reload
	buffer_load_dword a40, off, s[0:3], 0 offset:2000 ; 4-byte Folded Reload
	buffer_load_dword a41, off, s[0:3], 0 offset:2004 ; 4-byte Folded Reload
	buffer_load_dword a42, off, s[0:3], 0 offset:2008 ; 4-byte Folded Reload
	buffer_load_dword a43, off, s[0:3], 0 offset:2012 ; 4-byte Folded Reload
	v_cndmask_b32_e64 v11, v0, v85, s[18:19]
	v_cndmask_b32_e32 v0, v119, v117, vcc
	v_cndmask_b32_e64 v0, v0, v115, s[6:7]
	s_waitcnt vmcnt(15)
	v_accvgpr_read_b32 v76, a28
	buffer_load_dword a12, off, s[0:3], 0 offset:352 ; 4-byte Folded Reload
	buffer_load_dword a13, off, s[0:3], 0 offset:356 ; 4-byte Folded Reload
	;; [unrolled: 1-line block ×32, first 2 shown]
	v_cndmask_b32_e64 v10, v1, v76, s[18:19]
	v_cndmask_b32_e32 v1, v118, v116, vcc
	v_cndmask_b32_e64 v1, v1, v114, s[6:7]
	s_waitcnt vmcnt(24)
	v_accvgpr_read_b32 v61, a19
	v_accvgpr_read_b32 v60, a18
	buffer_load_dword a12, off, s[0:3], 0 offset:608 ; 4-byte Folded Reload
	buffer_load_dword a13, off, s[0:3], 0 offset:612 ; 4-byte Folded Reload
	;; [unrolled: 1-line block ×32, first 2 shown]
	v_cndmask_b32_e64 v0, v0, v61, s[8:9]
	v_cndmask_b32_e64 v1, v1, v60, s[8:9]
	s_waitcnt vmcnt(22)
	v_accvgpr_read_b32 v51, a21
	v_accvgpr_read_b32 v50, a20
	buffer_load_dword a12, off, s[0:3], 0 offset:1760 ; 4-byte Folded Reload
	buffer_load_dword a13, off, s[0:3], 0 offset:1764 ; 4-byte Folded Reload
	buffer_load_dword a14, off, s[0:3], 0 offset:1768 ; 4-byte Folded Reload
	buffer_load_dword a15, off, s[0:3], 0 offset:1772 ; 4-byte Folded Reload
	buffer_load_dword a16, off, s[0:3], 0 offset:1776 ; 4-byte Folded Reload
	buffer_load_dword a17, off, s[0:3], 0 offset:1780 ; 4-byte Folded Reload
	buffer_load_dword a18, off, s[0:3], 0 offset:1784 ; 4-byte Folded Reload
	buffer_load_dword a19, off, s[0:3], 0 offset:1788 ; 4-byte Folded Reload
	buffer_load_dword a20, off, s[0:3], 0 offset:1792 ; 4-byte Folded Reload
	buffer_load_dword a21, off, s[0:3], 0 offset:1796 ; 4-byte Folded Reload
	buffer_load_dword a22, off, s[0:3], 0 offset:1800 ; 4-byte Folded Reload
	buffer_load_dword a23, off, s[0:3], 0 offset:1804 ; 4-byte Folded Reload
	buffer_load_dword a24, off, s[0:3], 0 offset:1808 ; 4-byte Folded Reload
	buffer_load_dword a25, off, s[0:3], 0 offset:1812 ; 4-byte Folded Reload
	buffer_load_dword a26, off, s[0:3], 0 offset:1816 ; 4-byte Folded Reload
	buffer_load_dword a27, off, s[0:3], 0 offset:1820 ; 4-byte Folded Reload
	buffer_load_dword a28, off, s[0:3], 0 offset:1824 ; 4-byte Folded Reload
	buffer_load_dword a29, off, s[0:3], 0 offset:1828 ; 4-byte Folded Reload
	buffer_load_dword a30, off, s[0:3], 0 offset:1832 ; 4-byte Folded Reload
	buffer_load_dword a31, off, s[0:3], 0 offset:1836 ; 4-byte Folded Reload
	buffer_load_dword a32, off, s[0:3], 0 offset:1840 ; 4-byte Folded Reload
	buffer_load_dword a33, off, s[0:3], 0 offset:1844 ; 4-byte Folded Reload
	buffer_load_dword a34, off, s[0:3], 0 offset:1848 ; 4-byte Folded Reload
	buffer_load_dword a35, off, s[0:3], 0 offset:1852 ; 4-byte Folded Reload
	buffer_load_dword a36, off, s[0:3], 0 offset:1856 ; 4-byte Folded Reload
	buffer_load_dword a37, off, s[0:3], 0 offset:1860 ; 4-byte Folded Reload
	buffer_load_dword a38, off, s[0:3], 0 offset:1864 ; 4-byte Folded Reload
	buffer_load_dword a39, off, s[0:3], 0 offset:1868 ; 4-byte Folded Reload
	buffer_load_dword a40, off, s[0:3], 0 offset:1872 ; 4-byte Folded Reload
	buffer_load_dword a41, off, s[0:3], 0 offset:1876 ; 4-byte Folded Reload
	buffer_load_dword a42, off, s[0:3], 0 offset:1880 ; 4-byte Folded Reload
	buffer_load_dword a43, off, s[0:3], 0 offset:1884 ; 4-byte Folded Reload
	v_cndmask_b32_e64 v0, v0, v51, s[10:11]
	v_cndmask_b32_e64 v1, v1, v50, s[10:11]
	;; [unrolled: 1-line block ×3, first 2 shown]
	s_waitcnt vmcnt(18)
	v_accvgpr_read_b32 v77, a25
	buffer_load_dword a12, off, s[0:3], 0 offset:1632 ; 4-byte Folded Reload
	buffer_load_dword a13, off, s[0:3], 0 offset:1636 ; 4-byte Folded Reload
	buffer_load_dword a14, off, s[0:3], 0 offset:1640 ; 4-byte Folded Reload
	buffer_load_dword a15, off, s[0:3], 0 offset:1644 ; 4-byte Folded Reload
	buffer_load_dword a16, off, s[0:3], 0 offset:1648 ; 4-byte Folded Reload
	buffer_load_dword a17, off, s[0:3], 0 offset:1652 ; 4-byte Folded Reload
	buffer_load_dword a18, off, s[0:3], 0 offset:1656 ; 4-byte Folded Reload
	buffer_load_dword a19, off, s[0:3], 0 offset:1660 ; 4-byte Folded Reload
	buffer_load_dword a20, off, s[0:3], 0 offset:1664 ; 4-byte Folded Reload
	buffer_load_dword a21, off, s[0:3], 0 offset:1668 ; 4-byte Folded Reload
	buffer_load_dword a22, off, s[0:3], 0 offset:1672 ; 4-byte Folded Reload
	buffer_load_dword a23, off, s[0:3], 0 offset:1676 ; 4-byte Folded Reload
	buffer_load_dword a24, off, s[0:3], 0 offset:1680 ; 4-byte Folded Reload
	buffer_load_dword a25, off, s[0:3], 0 offset:1684 ; 4-byte Folded Reload
	buffer_load_dword a26, off, s[0:3], 0 offset:1688 ; 4-byte Folded Reload
	buffer_load_dword a27, off, s[0:3], 0 offset:1692 ; 4-byte Folded Reload
	buffer_load_dword a28, off, s[0:3], 0 offset:1696 ; 4-byte Folded Reload
	buffer_load_dword a29, off, s[0:3], 0 offset:1700 ; 4-byte Folded Reload
	buffer_load_dword a30, off, s[0:3], 0 offset:1704 ; 4-byte Folded Reload
	buffer_load_dword a31, off, s[0:3], 0 offset:1708 ; 4-byte Folded Reload
	buffer_load_dword a32, off, s[0:3], 0 offset:1712 ; 4-byte Folded Reload
	buffer_load_dword a33, off, s[0:3], 0 offset:1716 ; 4-byte Folded Reload
	buffer_load_dword a34, off, s[0:3], 0 offset:1720 ; 4-byte Folded Reload
	buffer_load_dword a35, off, s[0:3], 0 offset:1724 ; 4-byte Folded Reload
	buffer_load_dword a36, off, s[0:3], 0 offset:1728 ; 4-byte Folded Reload
	buffer_load_dword a37, off, s[0:3], 0 offset:1732 ; 4-byte Folded Reload
	buffer_load_dword a38, off, s[0:3], 0 offset:1736 ; 4-byte Folded Reload
	buffer_load_dword a39, off, s[0:3], 0 offset:1740 ; 4-byte Folded Reload
	buffer_load_dword a40, off, s[0:3], 0 offset:1744 ; 4-byte Folded Reload
	buffer_load_dword a41, off, s[0:3], 0 offset:1748 ; 4-byte Folded Reload
	buffer_load_dword a42, off, s[0:3], 0 offset:1752 ; 4-byte Folded Reload
	buffer_load_dword a43, off, s[0:3], 0 offset:1756 ; 4-byte Folded Reload
	v_cndmask_b32_e64 v0, v0, v77, s[14:15]
	s_waitcnt vmcnt(16)
	v_accvgpr_read_b32 v73, a27
	buffer_load_dword a12, off, s[0:3], 0 offset:1504 ; 4-byte Folded Reload
	buffer_load_dword a13, off, s[0:3], 0 offset:1508 ; 4-byte Folded Reload
	buffer_load_dword a14, off, s[0:3], 0 offset:1512 ; 4-byte Folded Reload
	buffer_load_dword a15, off, s[0:3], 0 offset:1516 ; 4-byte Folded Reload
	buffer_load_dword a16, off, s[0:3], 0 offset:1520 ; 4-byte Folded Reload
	buffer_load_dword a17, off, s[0:3], 0 offset:1524 ; 4-byte Folded Reload
	buffer_load_dword a18, off, s[0:3], 0 offset:1528 ; 4-byte Folded Reload
	buffer_load_dword a19, off, s[0:3], 0 offset:1532 ; 4-byte Folded Reload
	buffer_load_dword a20, off, s[0:3], 0 offset:1536 ; 4-byte Folded Reload
	buffer_load_dword a21, off, s[0:3], 0 offset:1540 ; 4-byte Folded Reload
	buffer_load_dword a22, off, s[0:3], 0 offset:1544 ; 4-byte Folded Reload
	buffer_load_dword a23, off, s[0:3], 0 offset:1548 ; 4-byte Folded Reload
	buffer_load_dword a24, off, s[0:3], 0 offset:1552 ; 4-byte Folded Reload
	buffer_load_dword a25, off, s[0:3], 0 offset:1556 ; 4-byte Folded Reload
	buffer_load_dword a26, off, s[0:3], 0 offset:1560 ; 4-byte Folded Reload
	buffer_load_dword a27, off, s[0:3], 0 offset:1564 ; 4-byte Folded Reload
	buffer_load_dword a28, off, s[0:3], 0 offset:1568 ; 4-byte Folded Reload
	buffer_load_dword a29, off, s[0:3], 0 offset:1572 ; 4-byte Folded Reload
	buffer_load_dword a30, off, s[0:3], 0 offset:1576 ; 4-byte Folded Reload
	buffer_load_dword a31, off, s[0:3], 0 offset:1580 ; 4-byte Folded Reload
	buffer_load_dword a32, off, s[0:3], 0 offset:1584 ; 4-byte Folded Reload
	buffer_load_dword a33, off, s[0:3], 0 offset:1588 ; 4-byte Folded Reload
	buffer_load_dword a34, off, s[0:3], 0 offset:1592 ; 4-byte Folded Reload
	buffer_load_dword a35, off, s[0:3], 0 offset:1596 ; 4-byte Folded Reload
	buffer_load_dword a36, off, s[0:3], 0 offset:1600 ; 4-byte Folded Reload
	buffer_load_dword a37, off, s[0:3], 0 offset:1604 ; 4-byte Folded Reload
	buffer_load_dword a38, off, s[0:3], 0 offset:1608 ; 4-byte Folded Reload
	buffer_load_dword a39, off, s[0:3], 0 offset:1612 ; 4-byte Folded Reload
	buffer_load_dword a40, off, s[0:3], 0 offset:1616 ; 4-byte Folded Reload
	buffer_load_dword a41, off, s[0:3], 0 offset:1620 ; 4-byte Folded Reload
	buffer_load_dword a42, off, s[0:3], 0 offset:1624 ; 4-byte Folded Reload
	buffer_load_dword a43, off, s[0:3], 0 offset:1628 ; 4-byte Folded Reload
	v_cndmask_b32_e64 v0, v0, v73, s[16:17]
	;; [unrolled: 35-line block ×5, first 2 shown]
	v_cndmask_b32_e64 v12, v1, v66, s[18:19]
	v_cndmask_b32_e32 v1, v252, v248, vcc
	v_cndmask_b32_e64 v1, v1, v254, s[6:7]
	v_cndmask_b32_e64 v1, v1, v40, s[8:9]
	;; [unrolled: 1-line block ×5, first 2 shown]
	s_waitcnt vmcnt(14)
	v_accvgpr_read_b32 v71, a29
	buffer_load_dword a12, off, s[0:3], 0 offset:992 ; 4-byte Folded Reload
	buffer_load_dword a13, off, s[0:3], 0 offset:996 ; 4-byte Folded Reload
	;; [unrolled: 1-line block ×32, first 2 shown]
	v_cndmask_b32_e64 v13, v0, v71, s[18:19]
	v_cndmask_b32_e32 v0, v253, v249, vcc
	v_cndmask_b32_e64 v0, v0, v255, s[6:7]
	v_cndmask_b32_e64 v0, v0, v41, s[8:9]
	;; [unrolled: 1-line block ×5, first 2 shown]
	v_cmp_eq_u32_e32 vcc, 1, v18
	v_cmp_eq_u32_e64 s[6:7], 2, v18
	v_cmp_eq_u32_e64 s[8:9], 3, v18
	;; [unrolled: 1-line block ×5, first 2 shown]
	s_waitcnt vmcnt(16)
	v_accvgpr_read_b32 v65, a27
	buffer_load_dword a12, off, s[0:3], 0 offset:864 ; 4-byte Folded Reload
	buffer_load_dword a13, off, s[0:3], 0 offset:868 ; 4-byte Folded Reload
	;; [unrolled: 1-line block ×32, first 2 shown]
	v_cndmask_b32_e64 v0, v0, v65, s[16:17]
	s_waitcnt vmcnt(17)
	v_accvgpr_read_b32 v64, a26
	buffer_load_dword a12, off, s[0:3], 0 offset:736 ; 4-byte Folded Reload
	buffer_load_dword a13, off, s[0:3], 0 offset:740 ; 4-byte Folded Reload
	;; [unrolled: 1-line block ×32, first 2 shown]
	v_cndmask_b32_e64 v1, v1, v64, s[16:17]
	v_cmp_eq_u32_e64 s[16:17], 7, v18
	s_waitcnt vmcnt(14)
	v_accvgpr_read_b32 v63, a29
	buffer_load_dword a12, off, s[0:3], 0 offset:480 ; 4-byte Folded Reload
	buffer_load_dword a13, off, s[0:3], 0 offset:484 ; 4-byte Folded Reload
	;; [unrolled: 1-line block ×32, first 2 shown]
	v_cndmask_b32_e64 v15, v0, v63, s[18:19]
	v_cndmask_b32_e32 v0, v119, v117, vcc
	v_cndmask_b32_e64 v0, v0, v115, s[6:7]
	v_cndmask_b32_e64 v0, v0, v61, s[8:9]
	;; [unrolled: 1-line block ×6, first 2 shown]
	s_waitcnt vmcnt(15)
	v_accvgpr_read_b32 v62, a28
	v_cndmask_b32_e64 v14, v1, v62, s[18:19]
	v_cndmask_b32_e32 v1, v118, v116, vcc
	v_cndmask_b32_e64 v1, v1, v114, s[6:7]
	v_cndmask_b32_e64 v1, v1, v60, s[8:9]
	v_cndmask_b32_e64 v1, v1, v50, s[10:11]
	v_cndmask_b32_e64 v1, v1, v72, s[12:13]
	v_cndmask_b32_e64 v1, v1, v70, s[14:15]
	v_cmp_eq_u32_e64 s[18:19], 8, v18
	v_cndmask_b32_e64 v1, v1, v68, s[16:17]
	v_cndmask_b32_e64 v19, v0, v71, s[18:19]
	;; [unrolled: 1-line block ×3, first 2 shown]
	v_cndmask_b32_e32 v0, v113, v109, vcc
	v_cndmask_b32_e32 v1, v112, v108, vcc
	v_cndmask_b32_e64 v0, v0, v107, s[6:7]
	v_cndmask_b32_e64 v1, v1, v106, s[6:7]
	;; [unrolled: 1-line block ×14, first 2 shown]
	v_cndmask_b32_e32 v0, v253, v249, vcc
	v_cndmask_b32_e32 v1, v252, v248, vcc
	v_cndmask_b32_e64 v0, v0, v255, s[6:7]
	v_cndmask_b32_e64 v1, v1, v254, s[6:7]
	;; [unrolled: 1-line block ×14, first 2 shown]
	v_add_f64 v[34:35], v[18:19], -v[12:13]
	v_add_f64 v[30:31], v[26:27], -v[10:11]
	v_mul_f64 v[20:21], v[14:15], v[10:11]
	v_mul_f64 v[22:23], v[12:13], v[14:15]
	v_mul_f64 v[24:25], v[14:15], v[14:15]
	v_pk_mov_b32 v[0:1], v[6:7], v[6:7] op_sel:[0,1]
.LBB4_93:                               ; =>This Inner Loop Header: Depth=1
	v_cmp_eq_u32_e32 vcc, 1, v17
	v_cmp_eq_u32_e64 s[6:7], 2, v17
	v_cmp_eq_u32_e64 s[8:9], 3, v17
	;; [unrolled: 1-line block ×7, first 2 shown]
	v_lshl_add_u32 v17, v17, 2, v208
	buffer_load_dword v17, v17, s[0:3], 0 offen
	v_cndmask_b32_e32 v38, v113, v109, vcc
	v_cndmask_b32_e32 v39, v112, v108, vcc
	v_cndmask_b32_e64 v38, v38, v107, s[6:7]
	v_cndmask_b32_e64 v39, v39, v106, s[6:7]
	;; [unrolled: 1-line block ×14, first 2 shown]
	v_cndmask_b32_e32 v42, v119, v117, vcc
	v_cndmask_b32_e32 v43, v118, v116, vcc
	v_cndmask_b32_e64 v42, v42, v115, s[6:7]
	v_cndmask_b32_e64 v43, v43, v114, s[6:7]
	;; [unrolled: 1-line block ×14, first 2 shown]
	v_add_f64 v[44:45], v[38:39], -v[10:11]
	v_mul_f64 v[34:35], v[44:45], v[34:35]
	v_add_f64 v[46:47], v[42:43], -v[12:13]
	v_fma_f64 v[30:31], v[46:47], v[30:31], -v[34:35]
	v_cndmask_b32_e32 v34, v253, v249, vcc
	v_cndmask_b32_e32 v35, v252, v248, vcc
	v_cndmask_b32_e64 v34, v34, v255, s[6:7]
	v_cndmask_b32_e64 v35, v35, v254, s[6:7]
	;; [unrolled: 1-line block ×14, first 2 shown]
	v_fma_f64 v[52:53], v[28:29], v[28:29], v[24:25]
	v_fmac_f64_e32 v[52:53], v[48:49], v[48:49]
	v_fmac_f64_e32 v[52:53], v[14:15], v[28:29]
	;; [unrolled: 1-line block ×3, first 2 shown]
	v_add_f64 v[54:55], v[14:15], v[28:29]
	v_add_f64 v[34:35], v[10:11], v[26:27]
	v_fma_f64 v[26:27], v[26:27], v[28:29], v[20:21]
	v_fmac_f64_e32 v[52:53], v[48:49], v[28:29]
	v_fma_f64 v[28:29], v[18:19], v[28:29], v[22:23]
	v_add_f64 v[18:19], v[12:13], v[18:19]
	v_add_f64 v[54:55], v[48:49], v[54:55]
	;; [unrolled: 1-line block ×4, first 2 shown]
	v_fmac_f64_e32 v[6:7], v[54:55], v[30:31]
	v_mul_f64 v[54:55], v[54:55], v[30:31]
	v_mul_f64 v[34:35], v[34:35], v[54:55]
	;; [unrolled: 1-line block ×3, first 2 shown]
	v_fmac_f64_e32 v[26:27], v[48:49], v[38:39]
	v_fmac_f64_e32 v[28:29], v[42:43], v[48:49]
	;; [unrolled: 1-line block ×5, first 2 shown]
	v_add_f64 v[0:1], v[0:1], v[34:35]
	v_add_f64 v[2:3], v[2:3], v[18:19]
	v_pk_mov_b32 v[26:27], v[38:39], v[38:39] op_sel:[0,1]
	v_pk_mov_b32 v[18:19], v[42:43], v[42:43] op_sel:[0,1]
	;; [unrolled: 1-line block ×3, first 2 shown]
	s_waitcnt vmcnt(0)
	v_cmp_gt_i32_e32 vcc, 0, v17
	v_pk_mov_b32 v[30:31], v[44:45], v[44:45] op_sel:[0,1]
	s_or_b64 s[24:25], vcc, s[24:25]
	v_pk_mov_b32 v[28:29], v[48:49], v[48:49] op_sel:[0,1]
	s_andn2_b64 exec, exec, s[24:25]
	s_cbranch_execnz .LBB4_93
; %bb.94:
	s_or_b64 exec, exec, s[24:25]
	v_mov_b32_e32 v29, v81
	v_mov_b32_e32 v31, v83
.LBB4_95:
	s_or_b64 exec, exec, s[22:23]
.LBB4_96:
	s_or_b64 exec, exec, s[20:21]
	s_and_saveexec_b64 s[22:23], s[4:5]
	s_cbranch_execz .LBB4_100
; %bb.97:
	s_mov_b32 s26, 0x4ad4b81f
	s_mov_b64 s[24:25], 0
	s_mov_b32 s27, 0xb58dee7a
	v_mov_b32_e32 v8, 0
	v_mov_b32_e32 v9, v36
	v_accvgpr_read_b32 v17, a61
	v_accvgpr_read_b32 v15, a77
.LBB4_98:                               ; =>This Inner Loop Header: Depth=1
	v_cmp_eq_u32_e32 vcc, 1, v9
	v_cmp_eq_u32_e64 s[6:7], 2, v9
	v_cmp_eq_u32_e64 s[8:9], 3, v9
	;; [unrolled: 1-line block ×8, first 2 shown]
	v_lshl_add_u32 v9, v9, 2, v8
	buffer_load_dword v9, v9, s[0:3], 0 offen
	v_cndmask_b32_e32 v10, v33, v251, vcc
	v_cndmask_b32_e32 v11, v32, v250, vcc
	v_cndmask_b32_e64 v10, v10, v205, s[6:7]
	v_cndmask_b32_e64 v11, v11, v204, s[6:7]
	;; [unrolled: 1-line block ×14, first 2 shown]
	v_add_f64 v[10:11], -v[10:11], s[26:27]
	v_cndmask_b32_e32 v251, v251, v11, vcc
	v_cndmask_b32_e32 v250, v250, v10, vcc
	v_cndmask_b32_e64 v17, v17, v11, s[18:19]
	v_cndmask_b32_e64 v16, v16, v10, s[18:19]
	;; [unrolled: 1-line block ×16, first 2 shown]
	s_waitcnt vmcnt(0)
	v_cmp_gt_i32_e32 vcc, 0, v9
	s_or_b64 s[24:25], vcc, s[24:25]
	s_andn2_b64 exec, exec, s[24:25]
	s_cbranch_execnz .LBB4_98
; %bb.99:
	s_or_b64 exec, exec, s[24:25]
	v_cmp_eq_u32_e32 vcc, 1, v36
	v_cndmask_b32_e32 v8, v33, v251, vcc
	v_cmp_eq_u32_e64 s[6:7], 2, v36
	v_cndmask_b32_e32 v9, v32, v250, vcc
	v_cndmask_b32_e64 v8, v8, v205, s[6:7]
	v_cmp_eq_u32_e64 s[8:9], 3, v36
	v_cndmask_b32_e64 v9, v9, v204, s[6:7]
	v_cndmask_b32_e64 v8, v8, v99, s[8:9]
	v_cmp_eq_u32_e64 s[10:11], 4, v36
	v_cndmask_b32_e64 v9, v9, v98, s[8:9]
	;; [unrolled: 3-line block ×5, first 2 shown]
	v_cndmask_b32_e64 v8, v8, v15, s[16:17]
	v_cndmask_b32_e64 v10, v9, v170, s[16:17]
	v_cmp_eq_u32_e32 vcc, 8, v36
	v_accvgpr_write_b32 a77, v15
	v_accvgpr_write_b32 a61, v17
	v_cndmask_b32_e32 v9, v8, v17, vcc
	v_cndmask_b32_e32 v8, v10, v16, vcc
.LBB4_100:
	s_or_b64 exec, exec, s[22:23]
	v_pk_mov_b32 v[12:13], -1, -1
	v_mov_b32_e32 v20, -1
	v_pk_mov_b32 v[14:15], v[12:13], v[12:13] op_sel:[0,1]
	v_pk_mov_b32 v[10:11], v[8:9], v[8:9] op_sel:[0,1]
	v_mov_b32_e32 v21, -1
	s_and_saveexec_b64 s[14:15], s[4:5]
	s_cbranch_execz .LBB4_104
; %bb.101:
	s_mov_b64 s[16:17], 0
	v_mov_b32_e32 v20, -1
	v_mov_b32_e32 v13, 0
	v_mov_b32_e32 v15, v36
	v_mov_b32_e32 v12, -1
	v_mov_b32_e32 v14, -1
	;; [unrolled: 1-line block ×3, first 2 shown]
	v_pk_mov_b32 v[18:19], v[8:9], v[8:9] op_sel:[0,1]
	v_accvgpr_read_b32 v25, a61
	v_accvgpr_read_b32 v27, a77
.LBB4_102:                              ; =>This Inner Loop Header: Depth=1
	v_lshl_add_u32 v10, v15, 2, v13
	buffer_load_dword v17, v10, s[0:3], 0 offen
	s_waitcnt vmcnt(0)
	v_cmp_gt_i32_e32 vcc, 0, v17
	v_cndmask_b32_e32 v24, v17, v36, vcc
	v_cmp_eq_u32_e64 s[6:7], 1, v24
	v_cndmask_b32_e64 v10, v33, v251, s[6:7]
	v_cmp_eq_u32_e64 s[8:9], 2, v24
	v_cndmask_b32_e64 v11, v32, v250, s[6:7]
	v_cndmask_b32_e64 v10, v10, v205, s[8:9]
	v_cmp_eq_u32_e64 s[10:11], 3, v24
	v_cndmask_b32_e64 v11, v11, v204, s[8:9]
	;; [unrolled: 3-line block ×6, first 2 shown]
	v_cndmask_b32_e64 v10, v10, v27, s[8:9]
	v_cndmask_b32_e64 v11, v11, v170, s[8:9]
	v_cmp_eq_u32_e64 s[6:7], 8, v24
	v_cndmask_b32_e64 v23, v10, v25, s[6:7]
	v_cndmask_b32_e64 v22, v11, v16, s[6:7]
	v_pk_mov_b32 v[10:11], v[18:19], v[18:19] op_sel:[0,1]
	v_cmp_le_f64_e64 s[6:7], 0, v[10:11]
	v_cmp_gt_f64_e64 s[8:9], 0, v[10:11]
	v_cmp_gt_f64_e64 s[10:11], 0, v[22:23]
	v_cmp_le_f64_e64 s[12:13], 0, v[22:23]
	s_and_b64 s[6:7], s[6:7], s[10:11]
	s_and_b64 s[8:9], s[8:9], s[12:13]
	v_cndmask_b32_e64 v14, v14, v24, s[6:7]
	v_cndmask_b32_e64 v21, v21, v24, s[8:9]
	;; [unrolled: 1-line block ×4, first 2 shown]
	s_or_b64 s[16:17], vcc, s[16:17]
	v_mov_b32_e32 v15, v17
	v_pk_mov_b32 v[18:19], v[22:23], v[22:23] op_sel:[0,1]
	s_andn2_b64 exec, exec, s[16:17]
	s_cbranch_execnz .LBB4_102
; %bb.103:
	s_or_b64 exec, exec, s[16:17]
.LBB4_104:
	s_or_b64 exec, exec, s[14:15]
	v_cmp_lt_i32_e64 s[6:7], -1, v20
	v_mov_b32_e32 v18, -1
	v_mov_b32_e32 v13, -1
	;; [unrolled: 1-line block ×3, first 2 shown]
	s_and_saveexec_b64 s[56:57], s[6:7]
	s_cbranch_execz .LBB4_106
; %bb.105:
	buffer_load_dword a12, off, s[0:3], 0 offset:224 ; 4-byte Folded Reload
	buffer_load_dword a13, off, s[0:3], 0 offset:228 ; 4-byte Folded Reload
	buffer_load_dword a14, off, s[0:3], 0 offset:232 ; 4-byte Folded Reload
	buffer_load_dword a15, off, s[0:3], 0 offset:236 ; 4-byte Folded Reload
	buffer_load_dword a16, off, s[0:3], 0 offset:240 ; 4-byte Folded Reload
	buffer_load_dword a17, off, s[0:3], 0 offset:244 ; 4-byte Folded Reload
	buffer_load_dword a18, off, s[0:3], 0 offset:248 ; 4-byte Folded Reload
	buffer_load_dword a19, off, s[0:3], 0 offset:252 ; 4-byte Folded Reload
	buffer_load_dword a20, off, s[0:3], 0 offset:256 ; 4-byte Folded Reload
	buffer_load_dword a21, off, s[0:3], 0 offset:260 ; 4-byte Folded Reload
	buffer_load_dword a22, off, s[0:3], 0 offset:264 ; 4-byte Folded Reload
	buffer_load_dword a23, off, s[0:3], 0 offset:268 ; 4-byte Folded Reload
	buffer_load_dword a24, off, s[0:3], 0 offset:272 ; 4-byte Folded Reload
	buffer_load_dword a25, off, s[0:3], 0 offset:276 ; 4-byte Folded Reload
	buffer_load_dword a26, off, s[0:3], 0 offset:280 ; 4-byte Folded Reload
	buffer_load_dword a27, off, s[0:3], 0 offset:284 ; 4-byte Folded Reload
	buffer_load_dword a28, off, s[0:3], 0 offset:288 ; 4-byte Folded Reload
	buffer_load_dword a29, off, s[0:3], 0 offset:292 ; 4-byte Folded Reload
	buffer_load_dword a30, off, s[0:3], 0 offset:296 ; 4-byte Folded Reload
	buffer_load_dword a31, off, s[0:3], 0 offset:300 ; 4-byte Folded Reload
	buffer_load_dword a32, off, s[0:3], 0 offset:304 ; 4-byte Folded Reload
	buffer_load_dword a33, off, s[0:3], 0 offset:308 ; 4-byte Folded Reload
	buffer_load_dword a34, off, s[0:3], 0 offset:312 ; 4-byte Folded Reload
	buffer_load_dword a35, off, s[0:3], 0 offset:316 ; 4-byte Folded Reload
	buffer_load_dword a36, off, s[0:3], 0 offset:320 ; 4-byte Folded Reload
	buffer_load_dword a37, off, s[0:3], 0 offset:324 ; 4-byte Folded Reload
	buffer_load_dword a38, off, s[0:3], 0 offset:328 ; 4-byte Folded Reload
	buffer_load_dword a39, off, s[0:3], 0 offset:332 ; 4-byte Folded Reload
	buffer_load_dword a40, off, s[0:3], 0 offset:336 ; 4-byte Folded Reload
	buffer_load_dword a41, off, s[0:3], 0 offset:340 ; 4-byte Folded Reload
	buffer_load_dword a42, off, s[0:3], 0 offset:344 ; 4-byte Folded Reload
	buffer_load_dword a43, off, s[0:3], 0 offset:348 ; 4-byte Folded Reload
	v_cmp_eq_u32_e64 s[8:9], 1, v14
	v_cndmask_b32_e64 v13, v33, v251, s[8:9]
	v_cmp_eq_u32_e64 s[10:11], 2, v14
	v_cndmask_b32_e64 v13, v13, v205, s[10:11]
	;; [unrolled: 2-line block ×6, first 2 shown]
	v_cmp_eq_u32_e64 s[20:21], 7, v14
	v_accvgpr_read_b32 v85, a77
	v_cndmask_b32_e64 v13, v13, v85, s[20:21]
	v_cmp_eq_u32_e64 s[22:23], 8, v14
	v_accvgpr_read_b32 v83, a61
	v_cmp_eq_u32_e64 s[24:25], 1, v20
	v_cndmask_b32_e64 v14, v32, v250, s[8:9]
	v_cndmask_b32_e64 v15, v13, v83, s[22:23]
	v_cndmask_b32_e64 v13, v33, v251, s[24:25]
	v_cmp_eq_u32_e64 s[26:27], 2, v20
	v_cndmask_b32_e64 v17, v32, v250, s[24:25]
	v_cndmask_b32_e64 v14, v14, v204, s[10:11]
	v_cndmask_b32_e64 v13, v13, v205, s[26:27]
	;; [unrolled: 4-line block ×7, first 2 shown]
	v_cndmask_b32_e64 v17, v17, v170, s[38:39]
	v_cmp_eq_u32_e64 s[42:43], 8, v20
	v_cndmask_b32_e64 v14, v14, v16, s[22:23]
	v_cndmask_b32_e64 v45, v13, v83, s[42:43]
	;; [unrolled: 1-line block ×3, first 2 shown]
	v_add_f64 v[22:23], -v[14:15], 0
	v_add_f64 v[24:25], v[44:45], -v[14:15]
	v_div_scale_f64 v[26:27], s[40:41], v[24:25], v[24:25], v[22:23]
	v_mov_b32_e32 v87, v29
	v_rcp_f64_e32 v[28:29], v[26:27]
	v_mov_b32_e32 v89, v31
	v_accvgpr_read_b32 v65, a11
	v_cndmask_b32_e64 v13, v113, v109, s[24:25]
	v_fma_f64 v[30:31], -v[26:27], v[28:29], 1.0
	v_fmac_f64_e32 v[28:29], v[28:29], v[30:31]
	v_fma_f64 v[30:31], -v[26:27], v[28:29], 1.0
	v_fmac_f64_e32 v[28:29], v[28:29], v[30:31]
	v_div_scale_f64 v[30:31], vcc, v[22:23], v[24:25], v[22:23]
	v_mul_f64 v[34:35], v[30:31], v[28:29]
	v_fma_f64 v[26:27], -v[26:27], v[34:35], v[30:31]
	v_cndmask_b32_e64 v17, v112, v108, s[24:25]
	s_nop 0
	v_div_fmas_f64 v[26:27], v[26:27], v[28:29], v[34:35]
	v_div_fixup_f64 v[46:47], v[26:27], v[24:25], v[22:23]
	v_cndmask_b32_e64 v13, v13, v107, s[26:27]
	v_cndmask_b32_e64 v17, v17, v106, s[26:27]
	v_accvgpr_read_b32 v43, a117
	v_accvgpr_read_b32 v42, a210
	;; [unrolled: 1-line block ×6, first 2 shown]
	v_add_f64 v[48:49], -v[46:47], 1.0
	s_waitcnt vmcnt(24)
	v_accvgpr_read_b32 v31, a19
	v_accvgpr_read_b32 v30, a18
	buffer_load_dword a12, off, s[0:3], 0 offset:96 ; 4-byte Folded Reload
	buffer_load_dword a13, off, s[0:3], 0 offset:100 ; 4-byte Folded Reload
	;; [unrolled: 1-line block ×32, first 2 shown]
	v_cndmask_b32_e64 v13, v13, v31, s[28:29]
	v_cndmask_b32_e64 v17, v17, v30, s[28:29]
	v_cmp_eq_u32_e64 s[46:47], 7, v37
	v_cmp_eq_u32_e64 s[48:49], 6, v37
	;; [unrolled: 1-line block ×5, first 2 shown]
	v_cmp_eq_u32_e32 vcc, 4, v37
	v_accvgpr_read_b32 v77, a151
	v_accvgpr_read_b32 v73, a139
	v_mul_f64 v[14:15], v[14:15], v[48:49]
	v_fmac_f64_e32 v[14:15], v[44:45], v[46:47]
	v_cndmask_b32_e64 v78, v16, v14, s[44:45]
	v_cndmask_b32_e64 v99, v99, v15, s[40:41]
	v_cndmask_b32_e64 v96, v98, v14, s[40:41]
	v_cndmask_b32_e32 v98, v133, v15, vcc
	v_cndmask_b32_e64 v82, v83, v15, s[44:45]
	v_cndmask_b32_e64 v83, v85, v15, s[46:47]
	;; [unrolled: 1-line block ×6, first 2 shown]
	v_cndmask_b32_e32 v95, v132, v14, vcc
	v_cndmask_b32_e64 v81, v226, v14, s[50:51]
	s_waitcnt vmcnt(22)
	v_accvgpr_read_b32 v35, a21
	v_accvgpr_read_b32 v34, a20
	buffer_load_dword a12, off, s[0:3], 0 offset:2016 ; 4-byte Folded Reload
	buffer_load_dword a13, off, s[0:3], 0 offset:2020 ; 4-byte Folded Reload
	;; [unrolled: 1-line block ×32, first 2 shown]
	v_cndmask_b32_e64 v13, v13, v35, s[30:31]
	v_cndmask_b32_e64 v17, v17, v34, s[30:31]
	;; [unrolled: 1-line block ×8, first 2 shown]
	s_waitcnt vmcnt(14)
	v_accvgpr_read_b32 v19, a29
	buffer_load_dword a12, off, s[0:3], 0 offset:1888 ; 4-byte Folded Reload
	buffer_load_dword a13, off, s[0:3], 0 offset:1892 ; 4-byte Folded Reload
	;; [unrolled: 1-line block ×32, first 2 shown]
	v_cndmask_b32_e64 v23, v13, v19, s[42:43]
	v_cndmask_b32_e64 v13, v113, v109, s[8:9]
	;; [unrolled: 1-line block ×11, first 2 shown]
	s_waitcnt vmcnt(15)
	v_accvgpr_read_b32 v26, a28
	buffer_load_dword a12, off, s[0:3], 0 offset:352 ; 4-byte Folded Reload
	buffer_load_dword a13, off, s[0:3], 0 offset:356 ; 4-byte Folded Reload
	;; [unrolled: 1-line block ×32, first 2 shown]
	v_cndmask_b32_e64 v22, v17, v26, s[42:43]
	v_cndmask_b32_e64 v17, v112, v108, s[8:9]
	;; [unrolled: 1-line block ×9, first 2 shown]
	v_mul_f64 v[52:53], v[24:25], v[48:49]
	v_fmac_f64_e32 v[52:53], v[22:23], v[46:47]
	v_cndmask_b32_e64 v23, v28, v52, s[46:47]
	v_cndmask_b32_e64 v28, v27, v53, s[46:47]
	;; [unrolled: 1-line block ×8, first 2 shown]
	v_accvgpr_read_b32 v38, a44
	v_cndmask_b32_e64 v60, v30, v52, s[40:41]
	v_cndmask_b32_e64 v61, v31, v53, s[40:41]
	v_cndmask_b32_e32 v58, v34, v52, vcc
	v_cndmask_b32_e32 v59, v35, v53, vcc
	v_cndmask_b32_e64 v22, v26, v52, s[44:45]
	v_cndmask_b32_e64 v26, v43, v53, s[50:51]
	s_waitcnt vmcnt(24)
	v_accvgpr_read_b32 v57, a19
	v_accvgpr_read_b32 v56, a18
	buffer_load_dword a12, off, s[0:3], 0 offset:608 ; 4-byte Folded Reload
	buffer_load_dword a13, off, s[0:3], 0 offset:612 ; 4-byte Folded Reload
	;; [unrolled: 1-line block ×32, first 2 shown]
	v_cndmask_b32_e64 v13, v13, v57, s[28:29]
	v_cndmask_b32_e64 v17, v17, v56, s[28:29]
	s_waitcnt vmcnt(22)
	v_accvgpr_read_b32 v51, a21
	v_accvgpr_read_b32 v50, a20
	buffer_load_dword a0, off, s[0:3], 0 offset:1760 ; 4-byte Folded Reload
	buffer_load_dword a1, off, s[0:3], 0 offset:1764 ; 4-byte Folded Reload
	;; [unrolled: 1-line block ×32, first 2 shown]
	v_cndmask_b32_e64 v13, v13, v51, s[30:31]
	v_cndmask_b32_e64 v17, v17, v50, s[30:31]
	;; [unrolled: 1-line block ×3, first 2 shown]
	s_waitcnt vmcnt(18)
	v_accvgpr_read_b32 v63, a13
	buffer_load_dword a0, off, s[0:3], 0 offset:1632 ; 4-byte Folded Reload
	buffer_load_dword a1, off, s[0:3], 0 offset:1636 ; 4-byte Folded Reload
	buffer_load_dword a2, off, s[0:3], 0 offset:1640 ; 4-byte Folded Reload
	buffer_load_dword a3, off, s[0:3], 0 offset:1644 ; 4-byte Folded Reload
	buffer_load_dword a4, off, s[0:3], 0 offset:1648 ; 4-byte Folded Reload
	buffer_load_dword a5, off, s[0:3], 0 offset:1652 ; 4-byte Folded Reload
	buffer_load_dword a6, off, s[0:3], 0 offset:1656 ; 4-byte Folded Reload
	buffer_load_dword a7, off, s[0:3], 0 offset:1660 ; 4-byte Folded Reload
	buffer_load_dword a8, off, s[0:3], 0 offset:1664 ; 4-byte Folded Reload
	buffer_load_dword a9, off, s[0:3], 0 offset:1668 ; 4-byte Folded Reload
	buffer_load_dword a10, off, s[0:3], 0 offset:1672 ; 4-byte Folded Reload
	buffer_load_dword a11, off, s[0:3], 0 offset:1676 ; 4-byte Folded Reload
	buffer_load_dword a12, off, s[0:3], 0 offset:1680 ; 4-byte Folded Reload
	buffer_load_dword a13, off, s[0:3], 0 offset:1684 ; 4-byte Folded Reload
	buffer_load_dword a14, off, s[0:3], 0 offset:1688 ; 4-byte Folded Reload
	buffer_load_dword a15, off, s[0:3], 0 offset:1692 ; 4-byte Folded Reload
	buffer_load_dword a16, off, s[0:3], 0 offset:1696 ; 4-byte Folded Reload
	buffer_load_dword a17, off, s[0:3], 0 offset:1700 ; 4-byte Folded Reload
	buffer_load_dword a18, off, s[0:3], 0 offset:1704 ; 4-byte Folded Reload
	buffer_load_dword a19, off, s[0:3], 0 offset:1708 ; 4-byte Folded Reload
	buffer_load_dword a20, off, s[0:3], 0 offset:1712 ; 4-byte Folded Reload
	buffer_load_dword a21, off, s[0:3], 0 offset:1716 ; 4-byte Folded Reload
	buffer_load_dword a22, off, s[0:3], 0 offset:1720 ; 4-byte Folded Reload
	buffer_load_dword a23, off, s[0:3], 0 offset:1724 ; 4-byte Folded Reload
	buffer_load_dword a24, off, s[0:3], 0 offset:1728 ; 4-byte Folded Reload
	buffer_load_dword a25, off, s[0:3], 0 offset:1732 ; 4-byte Folded Reload
	buffer_load_dword a26, off, s[0:3], 0 offset:1736 ; 4-byte Folded Reload
	buffer_load_dword a27, off, s[0:3], 0 offset:1740 ; 4-byte Folded Reload
	buffer_load_dword a28, off, s[0:3], 0 offset:1744 ; 4-byte Folded Reload
	buffer_load_dword a29, off, s[0:3], 0 offset:1748 ; 4-byte Folded Reload
	buffer_load_dword a30, off, s[0:3], 0 offset:1752 ; 4-byte Folded Reload
	buffer_load_dword a31, off, s[0:3], 0 offset:1756 ; 4-byte Folded Reload
	v_cndmask_b32_e64 v13, v13, v63, s[36:37]
	s_waitcnt vmcnt(16)
	v_accvgpr_read_b32 v39, a15
	buffer_load_dword a0, off, s[0:3], 0 offset:1504 ; 4-byte Folded Reload
	buffer_load_dword a1, off, s[0:3], 0 offset:1508 ; 4-byte Folded Reload
	buffer_load_dword a2, off, s[0:3], 0 offset:1512 ; 4-byte Folded Reload
	buffer_load_dword a3, off, s[0:3], 0 offset:1516 ; 4-byte Folded Reload
	buffer_load_dword a4, off, s[0:3], 0 offset:1520 ; 4-byte Folded Reload
	buffer_load_dword a5, off, s[0:3], 0 offset:1524 ; 4-byte Folded Reload
	buffer_load_dword a6, off, s[0:3], 0 offset:1528 ; 4-byte Folded Reload
	buffer_load_dword a7, off, s[0:3], 0 offset:1532 ; 4-byte Folded Reload
	buffer_load_dword a8, off, s[0:3], 0 offset:1536 ; 4-byte Folded Reload
	buffer_load_dword a9, off, s[0:3], 0 offset:1540 ; 4-byte Folded Reload
	buffer_load_dword a10, off, s[0:3], 0 offset:1544 ; 4-byte Folded Reload
	buffer_load_dword a11, off, s[0:3], 0 offset:1548 ; 4-byte Folded Reload
	buffer_load_dword a12, off, s[0:3], 0 offset:1552 ; 4-byte Folded Reload
	buffer_load_dword a13, off, s[0:3], 0 offset:1556 ; 4-byte Folded Reload
	buffer_load_dword a14, off, s[0:3], 0 offset:1560 ; 4-byte Folded Reload
	buffer_load_dword a15, off, s[0:3], 0 offset:1564 ; 4-byte Folded Reload
	buffer_load_dword a16, off, s[0:3], 0 offset:1568 ; 4-byte Folded Reload
	buffer_load_dword a17, off, s[0:3], 0 offset:1572 ; 4-byte Folded Reload
	buffer_load_dword a18, off, s[0:3], 0 offset:1576 ; 4-byte Folded Reload
	buffer_load_dword a19, off, s[0:3], 0 offset:1580 ; 4-byte Folded Reload
	buffer_load_dword a20, off, s[0:3], 0 offset:1584 ; 4-byte Folded Reload
	buffer_load_dword a21, off, s[0:3], 0 offset:1588 ; 4-byte Folded Reload
	buffer_load_dword a22, off, s[0:3], 0 offset:1592 ; 4-byte Folded Reload
	buffer_load_dword a23, off, s[0:3], 0 offset:1596 ; 4-byte Folded Reload
	buffer_load_dword a24, off, s[0:3], 0 offset:1600 ; 4-byte Folded Reload
	buffer_load_dword a25, off, s[0:3], 0 offset:1604 ; 4-byte Folded Reload
	buffer_load_dword a26, off, s[0:3], 0 offset:1608 ; 4-byte Folded Reload
	buffer_load_dword a27, off, s[0:3], 0 offset:1612 ; 4-byte Folded Reload
	buffer_load_dword a28, off, s[0:3], 0 offset:1616 ; 4-byte Folded Reload
	buffer_load_dword a29, off, s[0:3], 0 offset:1620 ; 4-byte Folded Reload
	buffer_load_dword a30, off, s[0:3], 0 offset:1624 ; 4-byte Folded Reload
	buffer_load_dword a31, off, s[0:3], 0 offset:1628 ; 4-byte Folded Reload
	v_cndmask_b32_e64 v13, v13, v39, s[38:39]
	;; [unrolled: 35-line block ×5, first 2 shown]
	v_cndmask_b32_e64 v30, v17, v38, s[42:43]
	v_cndmask_b32_e64 v17, v118, v116, s[8:9]
	;; [unrolled: 1-line block ×15, first 2 shown]
	s_waitcnt vmcnt(14)
	v_accvgpr_read_b32 v19, a17
	buffer_load_dword a0, off, s[0:3], 0 offset:992 ; 4-byte Folded Reload
	buffer_load_dword a1, off, s[0:3], 0 offset:996 ; 4-byte Folded Reload
	;; [unrolled: 1-line block ×32, first 2 shown]
	v_cndmask_b32_e64 v31, v13, v19, s[42:43]
	v_cndmask_b32_e64 v13, v119, v117, s[8:9]
	;; [unrolled: 1-line block ×9, first 2 shown]
	v_mul_f64 v[54:55], v[34:35], v[48:49]
	v_fmac_f64_e32 v[54:55], v[30:31], v[46:47]
	v_cndmask_b32_e64 v43, v19, v55, s[44:45]
	v_cndmask_b32_e64 v13, v253, v249, s[24:25]
	;; [unrolled: 1-line block ×11, first 2 shown]
	v_cndmask_b32_e32 v62, v50, v54, vcc
	v_cndmask_b32_e32 v63, v51, v55, vcc
	v_cndmask_b32_e64 v35, v38, v54, s[44:45]
	v_cndmask_b32_e64 v30, v64, v54, s[50:51]
	;; [unrolled: 1-line block ×5, first 2 shown]
	v_cmp_eq_u32_e64 s[24:25], 1, v37
	v_cmp_eq_u32_e64 s[26:27], 0, v37
	v_cndmask_b32_e64 v103, v251, v15, s[24:25]
	v_cndmask_b32_e64 v104, v33, v15, s[26:27]
	v_cmp_eq_u32_e64 s[30:31], 1, v21
	v_cmp_eq_u32_e64 s[36:37], 2, v21
	v_cndmask_b32_e64 v100, v250, v14, s[24:25]
	v_cndmask_b32_e64 v101, v32, v14, s[26:27]
	;; [unrolled: 1-line block ×5, first 2 shown]
	s_waitcnt vmcnt(16)
	v_accvgpr_read_b32 v71, a15
	buffer_load_dword a0, off, s[0:3], 0 offset:864 ; 4-byte Folded Reload
	buffer_load_dword a1, off, s[0:3], 0 offset:868 ; 4-byte Folded Reload
	;; [unrolled: 1-line block ×32, first 2 shown]
	v_cndmask_b32_e64 v13, v13, v71, s[38:39]
	s_waitcnt vmcnt(17)
	v_accvgpr_read_b32 v68, a14
	buffer_load_dword a0, off, s[0:3], 0 offset:736 ; 4-byte Folded Reload
	buffer_load_dword a1, off, s[0:3], 0 offset:740 ; 4-byte Folded Reload
	;; [unrolled: 1-line block ×32, first 2 shown]
	v_cndmask_b32_e64 v17, v17, v68, s[38:39]
	v_cmp_eq_u32_e64 s[38:39], 3, v21
	s_waitcnt vmcnt(14)
	v_accvgpr_read_b32 v19, a17
	buffer_load_dword a0, off, s[0:3], 0 offset:480 ; 4-byte Folded Reload
	buffer_load_dword a1, off, s[0:3], 0 offset:484 ; 4-byte Folded Reload
	;; [unrolled: 1-line block ×32, first 2 shown]
	v_cndmask_b32_e64 v51, v13, v19, s[42:43]
	v_cndmask_b32_e64 v13, v253, v249, s[8:9]
	;; [unrolled: 1-line block ×9, first 2 shown]
	v_mov_b32_e32 v13, 0
	v_lshl_add_u32 v16, v37, 2, v13
	s_waitcnt vmcnt(15)
	v_accvgpr_read_b32 v66, a16
	v_cndmask_b32_e64 v50, v17, v66, s[42:43]
	v_cndmask_b32_e64 v17, v252, v248, s[8:9]
	;; [unrolled: 1-line block ×9, first 2 shown]
	v_mul_f64 v[56:57], v[56:57], v[48:49]
	v_fmac_f64_e32 v[56:57], v[50:51], v[46:47]
	v_cndmask_b32_e64 v70, v19, v57, s[44:45]
	buffer_load_dword v19, v16, s[0:3], 0 offen
	v_cmp_eq_u32_e64 s[8:9], 2, v37
	v_cndmask_b32_e64 v102, v205, v15, s[8:9]
	v_cndmask_b32_e64 v16, v104, v103, s[30:31]
	;; [unrolled: 1-line block ×8, first 2 shown]
	v_cmp_eq_u32_e64 s[40:41], 4, v21
	v_cndmask_b32_e64 v16, v16, v98, s[40:41]
	v_cmp_eq_u32_e64 s[42:43], 5, v21
	v_cndmask_b32_e64 v66, v66, v56, s[44:45]
	v_cndmask_b32_e64 v16, v16, v85, s[42:43]
	v_cmp_eq_u32_e64 s[44:45], 6, v21
	v_cndmask_b32_e64 v67, v68, v56, s[46:47]
	v_cndmask_b32_e64 v71, v71, v57, s[46:47]
	;; [unrolled: 1-line block ×3, first 2 shown]
	v_cmp_eq_u32_e64 s[46:47], 7, v21
	v_cndmask_b32_e64 v68, v146, v56, s[48:49]
	v_cndmask_b32_e64 v50, v106, v52, s[8:9]
	;; [unrolled: 1-line block ×8, first 2 shown]
	v_cmp_eq_u32_e64 s[8:9], 1, v12
	v_cndmask_b32_e64 v16, v16, v83, s[46:47]
	v_cmp_eq_u32_e64 s[48:49], 8, v21
	v_cmp_eq_u32_e64 s[10:11], 2, v12
	;; [unrolled: 1-line block ×8, first 2 shown]
	v_cndmask_b32_e64 v12, v101, v100, s[8:9]
	v_cndmask_b32_e64 v17, v16, v82, s[48:49]
	;; [unrolled: 1-line block ×17, first 2 shown]
	v_cndmask_b32_e32 v74, v74, v56, vcc
	v_cndmask_b32_e32 v75, v75, v57, vcc
	v_cndmask_b32_e64 v53, v113, v53, s[26:27]
	v_cndmask_b32_e64 v51, v108, v52, s[24:25]
	v_cndmask_b32_e64 v52, v112, v52, s[26:27]
	v_cndmask_b32_e64 v69, v110, v56, s[50:51]
	v_cndmask_b32_e64 v54, v118, v54, s[26:27]
	v_cndmask_b32_e64 v55, v119, v55, s[26:27]
	v_cndmask_b32_e64 v93, v248, v56, s[24:25]
	v_cndmask_b32_e64 v56, v252, v56, s[26:27]
	v_cndmask_b32_e64 v105, v249, v57, s[24:25]
	v_cndmask_b32_e64 v57, v253, v57, s[26:27]
	s_waitcnt vmcnt(0)
	v_lshl_add_u32 v13, v19, 2, v13
	buffer_load_dword v46, v13, s[0:3], 0 offen
	v_cndmask_b32_e64 v13, v104, v103, s[8:9]
	v_cndmask_b32_e64 v13, v13, v102, s[10:11]
	v_cndmask_b32_e64 v13, v13, v99, s[12:13]
	v_cndmask_b32_e64 v13, v13, v98, s[14:15]
	v_cndmask_b32_e64 v13, v13, v85, s[16:17]
	v_cndmask_b32_e64 v13, v13, v84, s[18:19]
	v_cndmask_b32_e64 v13, v13, v83, s[20:21]
	v_cndmask_b32_e64 v13, v13, v82, s[22:23]
	v_add_f64 v[14:15], -v[12:13], 0
	v_add_f64 v[32:33], v[16:17], -v[12:13]
	v_div_scale_f64 v[40:41], s[28:29], v[32:33], v[32:33], v[14:15]
	v_rcp_f64_e32 v[44:45], v[40:41]
	v_cmp_eq_u32_e64 s[24:25], 3, v19
	v_cmp_eq_u32_e64 s[26:27], 2, v19
	;; [unrolled: 1-line block ×4, first 2 shown]
	s_waitcnt vmcnt(0)
	buffer_store_dword v46, off, s[0:3], 0 offset:92
	v_fma_f64 v[46:47], -v[40:41], v[44:45], 1.0
	v_fmac_f64_e32 v[44:45], v[44:45], v[46:47]
	v_fma_f64 v[46:47], -v[40:41], v[44:45], 1.0
	v_fmac_f64_e32 v[44:45], v[44:45], v[46:47]
	v_div_scale_f64 v[46:47], vcc, v[14:15], v[32:33], v[14:15]
	v_mul_f64 v[48:49], v[46:47], v[44:45]
	v_fma_f64 v[40:41], -v[40:41], v[48:49], v[46:47]
	s_nop 1
	v_div_fmas_f64 v[40:41], v[40:41], v[44:45], v[48:49]
	v_div_fixup_f64 v[32:33], v[40:41], v[32:33], v[14:15]
	v_cndmask_b32_e64 v14, v53, v87, s[30:31]
	v_cndmask_b32_e64 v14, v14, v86, s[36:37]
	;; [unrolled: 1-line block ×32, first 2 shown]
	v_add_f64 v[44:45], -v[32:33], 1.0
	v_mul_f64 v[14:15], v[14:15], v[44:45]
	v_fmac_f64_e32 v[14:15], v[40:41], v[32:33]
	v_cmp_eq_u32_e32 vcc, 4, v19
	v_cndmask_b32_e32 v41, v59, v15, vcc
	v_cndmask_b32_e32 v40, v58, v14, vcc
	buffer_store_dword v32, off, s[0:3], 0 offset:96 ; 4-byte Folded Spill
	s_nop 0
	buffer_store_dword v33, off, s[0:3], 0 offset:100 ; 4-byte Folded Spill
	buffer_store_dword v34, off, s[0:3], 0 offset:104 ; 4-byte Folded Spill
	;; [unrolled: 1-line block ×31, first 2 shown]
	v_cndmask_b32_e64 v107, v86, v15, s[26:27]
	v_cndmask_b32_e64 v109, v87, v15, s[28:29]
	;; [unrolled: 1-line block ×4, first 2 shown]
	buffer_store_dword v34, off, s[0:3], 0 offset:224 ; 4-byte Folded Spill
	s_nop 0
	buffer_store_dword v35, off, s[0:3], 0 offset:228 ; 4-byte Folded Spill
	buffer_store_dword v36, off, s[0:3], 0 offset:232 ; 4-byte Folded Spill
	;; [unrolled: 1-line block ×31, first 2 shown]
	v_cndmask_b32_e64 v46, v55, v91, s[8:9]
	v_cndmask_b32_e64 v40, v55, v91, s[30:31]
	;; [unrolled: 1-line block ×32, first 2 shown]
	v_mul_f64 v[46:47], v[46:47], v[44:45]
	v_cndmask_b32_e64 v48, v57, v105, s[8:9]
	v_fmac_f64_e32 v[46:47], v[40:41], v[32:33]
	v_cndmask_b32_e64 v40, v57, v105, s[30:31]
	v_cndmask_b32_e64 v48, v48, v94, s[10:11]
	;; [unrolled: 1-line block ×31, first 2 shown]
	v_mul_f64 v[48:49], v[48:49], v[44:45]
	v_mul_f64 v[44:45], v[12:13], v[44:45]
	v_cndmask_b32_e32 v13, v63, v47, vcc
	v_cndmask_b32_e32 v12, v62, v46, vcc
	v_cndmask_b32_e64 v106, v50, v14, s[26:27]
	v_cndmask_b32_e64 v108, v51, v14, s[28:29]
	;; [unrolled: 1-line block ×4, first 2 shown]
	v_fmac_f64_e32 v[48:49], v[40:41], v[32:33]
	v_fmac_f64_e32 v[44:45], v[16:17], v[32:33]
	buffer_store_dword v4, off, s[0:3], 0 offset:608 ; 4-byte Folded Spill
	s_nop 0
	buffer_store_dword v5, off, s[0:3], 0 offset:612 ; 4-byte Folded Spill
	buffer_store_dword v6, off, s[0:3], 0 offset:616 ; 4-byte Folded Spill
	;; [unrolled: 1-line block ×31, first 2 shown]
	v_cndmask_b32_e64 v13, v65, v47, s[24:25]
	v_cndmask_b32_e64 v12, v64, v46, s[24:25]
	buffer_store_dword v6, off, s[0:3], 0 offset:352 ; 4-byte Folded Spill
	s_nop 0
	buffer_store_dword v7, off, s[0:3], 0 offset:356 ; 4-byte Folded Spill
	buffer_store_dword v8, off, s[0:3], 0 offset:360 ; 4-byte Folded Spill
	;; [unrolled: 1-line block ×31, first 2 shown]
	v_cndmask_b32_e32 v75, v75, v49, vcc
	v_cndmask_b32_e32 v74, v74, v48, vcc
	;; [unrolled: 1-line block ×4, first 2 shown]
	v_cndmask_b32_e64 v33, v104, v45, s[34:35]
	v_cndmask_b32_e64 v32, v101, v44, s[34:35]
	v_cndmask_b32_e64 v115, v90, v47, s[26:27]
	v_cndmask_b32_e64 v114, v88, v46, s[26:27]
	v_cndmask_b32_e64 v117, v91, v47, s[28:29]
	v_cndmask_b32_e64 v116, v89, v46, s[28:29]
	v_cndmask_b32_e64 v119, v55, v47, s[34:35]
	v_cndmask_b32_e64 v118, v54, v46, s[34:35]
	v_cndmask_b32_e64 v41, v77, v49, s[24:25]
	v_cndmask_b32_e64 v40, v76, v48, s[24:25]
	v_cndmask_b32_e64 v255, v94, v49, s[26:27]
	v_cndmask_b32_e64 v254, v92, v48, s[26:27]
	v_cndmask_b32_e64 v249, v105, v49, s[28:29]
	v_cndmask_b32_e64 v248, v93, v48, s[28:29]
	v_cndmask_b32_e64 v253, v57, v49, s[34:35]
	v_cndmask_b32_e64 v252, v56, v48, s[34:35]
	v_cndmask_b32_e64 v99, v99, v45, s[24:25]
	v_cndmask_b32_e64 v98, v96, v44, s[24:25]
	v_cndmask_b32_e64 v205, v102, v45, s[26:27]
	v_cndmask_b32_e64 v204, v97, v44, s[26:27]
	v_cndmask_b32_e64 v251, v103, v45, s[28:29]
	v_cndmask_b32_e64 v250, v100, v44, s[28:29]
	v_cmp_eq_u32_e64 s[12:13], 8, v19
	v_mov_b32_e32 v13, v37
	v_cndmask_b32_e64 v17, v29, v15, s[12:13]
	v_cmp_eq_u32_e32 vcc, 7, v19
	v_cmp_eq_u32_e64 s[8:9], 6, v19
	v_cmp_eq_u32_e64 s[10:11], 5, v19
	buffer_store_dword v0, off, s[0:3], 0 offset:2016 ; 4-byte Folded Spill
	s_nop 0
	buffer_store_dword v1, off, s[0:3], 0 offset:2020 ; 4-byte Folded Spill
	buffer_store_dword v2, off, s[0:3], 0 offset:2024 ; 4-byte Folded Spill
	buffer_store_dword v3, off, s[0:3], 0 offset:2028 ; 4-byte Folded Spill
	buffer_store_dword v4, off, s[0:3], 0 offset:2032 ; 4-byte Folded Spill
	buffer_store_dword v5, off, s[0:3], 0 offset:2036 ; 4-byte Folded Spill
	buffer_store_dword v6, off, s[0:3], 0 offset:2040 ; 4-byte Folded Spill
	buffer_store_dword v7, off, s[0:3], 0 offset:2044 ; 4-byte Folded Spill
	buffer_store_dword v8, off, s[0:3], 0 offset:2048 ; 4-byte Folded Spill
	buffer_store_dword v9, off, s[0:3], 0 offset:2052 ; 4-byte Folded Spill
	buffer_store_dword v10, off, s[0:3], 0 offset:2056 ; 4-byte Folded Spill
	buffer_store_dword v11, off, s[0:3], 0 offset:2060 ; 4-byte Folded Spill
	buffer_store_dword v12, off, s[0:3], 0 offset:2064 ; 4-byte Folded Spill
	buffer_store_dword v13, off, s[0:3], 0 offset:2068 ; 4-byte Folded Spill
	buffer_store_dword v14, off, s[0:3], 0 offset:2072 ; 4-byte Folded Spill
	buffer_store_dword v15, off, s[0:3], 0 offset:2076 ; 4-byte Folded Spill
	buffer_store_dword v16, off, s[0:3], 0 offset:2080 ; 4-byte Folded Spill
	buffer_store_dword v17, off, s[0:3], 0 offset:2084 ; 4-byte Folded Spill
	buffer_store_dword v18, off, s[0:3], 0 offset:2088 ; 4-byte Folded Spill
	buffer_store_dword v19, off, s[0:3], 0 offset:2092 ; 4-byte Folded Spill
	buffer_store_dword v20, off, s[0:3], 0 offset:2096 ; 4-byte Folded Spill
	buffer_store_dword v21, off, s[0:3], 0 offset:2100 ; 4-byte Folded Spill
	buffer_store_dword v22, off, s[0:3], 0 offset:2104 ; 4-byte Folded Spill
	buffer_store_dword v23, off, s[0:3], 0 offset:2108 ; 4-byte Folded Spill
	buffer_store_dword v24, off, s[0:3], 0 offset:2112 ; 4-byte Folded Spill
	buffer_store_dword v25, off, s[0:3], 0 offset:2116 ; 4-byte Folded Spill
	buffer_store_dword v26, off, s[0:3], 0 offset:2120 ; 4-byte Folded Spill
	buffer_store_dword v27, off, s[0:3], 0 offset:2124 ; 4-byte Folded Spill
	buffer_store_dword v28, off, s[0:3], 0 offset:2128 ; 4-byte Folded Spill
	buffer_store_dword v29, off, s[0:3], 0 offset:2132 ; 4-byte Folded Spill
	buffer_store_dword v30, off, s[0:3], 0 offset:2136 ; 4-byte Folded Spill
	buffer_store_dword v31, off, s[0:3], 0 offset:2140 ; 4-byte Folded Spill
	v_cndmask_b32_e64 v146, v68, v48, s[8:9]
	v_cndmask_b32_e64 v110, v69, v48, s[10:11]
	v_cndmask_b32_e32 v170, v79, v44, vcc
	v_cndmask_b32_e64 v184, v80, v44, s[8:9]
	v_cndmask_b32_e64 v226, v81, v44, s[10:11]
	;; [unrolled: 1-line block ×3, first 2 shown]
	buffer_store_dword v0, off, s[0:3], 0 offset:1888 ; 4-byte Folded Spill
	s_nop 0
	buffer_store_dword v1, off, s[0:3], 0 offset:1892 ; 4-byte Folded Spill
	buffer_store_dword v2, off, s[0:3], 0 offset:1896 ; 4-byte Folded Spill
	;; [unrolled: 1-line block ×31, first 2 shown]
	v_cndmask_b32_e32 v17, v28, v15, vcc
	v_accvgpr_write_b32 a105, v17
	v_cndmask_b32_e64 v17, v27, v15, s[8:9]
	v_cndmask_b32_e64 v12, v24, v14, s[8:9]
	v_cndmask_b32_e32 v16, v23, v14, vcc
	v_accvgpr_write_b32 a165, v17
	v_accvgpr_write_b32 a198, v12
	v_cndmask_b32_e64 v15, v26, v15, s[10:11]
	v_cndmask_b32_e64 v12, v25, v14, s[10:11]
	;; [unrolled: 1-line block ×3, first 2 shown]
	v_accvgpr_write_b32 a232, v16
	v_accvgpr_write_b32 a117, v15
	;; [unrolled: 1-line block ×3, first 2 shown]
	buffer_store_dword v0, off, s[0:3], 0 offset:1120 ; 4-byte Folded Spill
	s_nop 0
	buffer_store_dword v1, off, s[0:3], 0 offset:1124 ; 4-byte Folded Spill
	buffer_store_dword v2, off, s[0:3], 0 offset:1128 ; 4-byte Folded Spill
	;; [unrolled: 1-line block ×31, first 2 shown]
	v_cndmask_b32_e64 v16, v35, v46, s[12:13]
	v_cndmask_b32_e32 v15, v42, v47, vcc
	v_accvgpr_write_b32 a44, v16
	buffer_store_dword v0, off, s[0:3], 0 offset:1632 ; 4-byte Folded Spill
	s_nop 0
	buffer_store_dword v1, off, s[0:3], 0 offset:1636 ; 4-byte Folded Spill
	buffer_store_dword v2, off, s[0:3], 0 offset:1640 ; 4-byte Folded Spill
	;; [unrolled: 1-line block ×31, first 2 shown]
	v_cndmask_b32_e32 v14, v34, v46, vcc
	buffer_store_dword v0, off, s[0:3], 0 offset:1248 ; 4-byte Folded Spill
	s_nop 0
	buffer_store_dword v1, off, s[0:3], 0 offset:1252 ; 4-byte Folded Spill
	buffer_store_dword v2, off, s[0:3], 0 offset:1256 ; 4-byte Folded Spill
	buffer_store_dword v3, off, s[0:3], 0 offset:1260 ; 4-byte Folded Spill
	buffer_store_dword v4, off, s[0:3], 0 offset:1264 ; 4-byte Folded Spill
	buffer_store_dword v5, off, s[0:3], 0 offset:1268 ; 4-byte Folded Spill
	buffer_store_dword v6, off, s[0:3], 0 offset:1272 ; 4-byte Folded Spill
	buffer_store_dword v7, off, s[0:3], 0 offset:1276 ; 4-byte Folded Spill
	buffer_store_dword v8, off, s[0:3], 0 offset:1280 ; 4-byte Folded Spill
	buffer_store_dword v9, off, s[0:3], 0 offset:1284 ; 4-byte Folded Spill
	buffer_store_dword v10, off, s[0:3], 0 offset:1288 ; 4-byte Folded Spill
	buffer_store_dword v11, off, s[0:3], 0 offset:1292 ; 4-byte Folded Spill
	buffer_store_dword v12, off, s[0:3], 0 offset:1296 ; 4-byte Folded Spill
	buffer_store_dword v13, off, s[0:3], 0 offset:1300 ; 4-byte Folded Spill
	buffer_store_dword v14, off, s[0:3], 0 offset:1304 ; 4-byte Folded Spill
	buffer_store_dword v15, off, s[0:3], 0 offset:1308 ; 4-byte Folded Spill
	buffer_store_dword v16, off, s[0:3], 0 offset:1312 ; 4-byte Folded Spill
	buffer_store_dword v17, off, s[0:3], 0 offset:1316 ; 4-byte Folded Spill
	buffer_store_dword v18, off, s[0:3], 0 offset:1320 ; 4-byte Folded Spill
	buffer_store_dword v19, off, s[0:3], 0 offset:1324 ; 4-byte Folded Spill
	buffer_store_dword v20, off, s[0:3], 0 offset:1328 ; 4-byte Folded Spill
	buffer_store_dword v21, off, s[0:3], 0 offset:1332 ; 4-byte Folded Spill
	buffer_store_dword v22, off, s[0:3], 0 offset:1336 ; 4-byte Folded Spill
	buffer_store_dword v23, off, s[0:3], 0 offset:1340 ; 4-byte Folded Spill
	buffer_store_dword v24, off, s[0:3], 0 offset:1344 ; 4-byte Folded Spill
	buffer_store_dword v25, off, s[0:3], 0 offset:1348 ; 4-byte Folded Spill
	buffer_store_dword v26, off, s[0:3], 0 offset:1352 ; 4-byte Folded Spill
	buffer_store_dword v27, off, s[0:3], 0 offset:1356 ; 4-byte Folded Spill
	buffer_store_dword v28, off, s[0:3], 0 offset:1360 ; 4-byte Folded Spill
	buffer_store_dword v29, off, s[0:3], 0 offset:1364 ; 4-byte Folded Spill
	buffer_store_dword v30, off, s[0:3], 0 offset:1368 ; 4-byte Folded Spill
	buffer_store_dword v31, off, s[0:3], 0 offset:1372 ; 4-byte Folded Spill
	v_cndmask_b32_e64 v15, v39, v47, s[8:9]
	buffer_store_dword v2, off, s[0:3], 0 offset:1760 ; 4-byte Folded Spill
	s_nop 0
	buffer_store_dword v3, off, s[0:3], 0 offset:1764 ; 4-byte Folded Spill
	buffer_store_dword v4, off, s[0:3], 0 offset:1768 ; 4-byte Folded Spill
	buffer_store_dword v5, off, s[0:3], 0 offset:1772 ; 4-byte Folded Spill
	buffer_store_dword v6, off, s[0:3], 0 offset:1776 ; 4-byte Folded Spill
	buffer_store_dword v7, off, s[0:3], 0 offset:1780 ; 4-byte Folded Spill
	buffer_store_dword v8, off, s[0:3], 0 offset:1784 ; 4-byte Folded Spill
	buffer_store_dword v9, off, s[0:3], 0 offset:1788 ; 4-byte Folded Spill
	buffer_store_dword v10, off, s[0:3], 0 offset:1792 ; 4-byte Folded Spill
	buffer_store_dword v11, off, s[0:3], 0 offset:1796 ; 4-byte Folded Spill
	buffer_store_dword v12, off, s[0:3], 0 offset:1800 ; 4-byte Folded Spill
	buffer_store_dword v13, off, s[0:3], 0 offset:1804 ; 4-byte Folded Spill
	buffer_store_dword v14, off, s[0:3], 0 offset:1808 ; 4-byte Folded Spill
	buffer_store_dword v15, off, s[0:3], 0 offset:1812 ; 4-byte Folded Spill
	buffer_store_dword v16, off, s[0:3], 0 offset:1816 ; 4-byte Folded Spill
	buffer_store_dword v17, off, s[0:3], 0 offset:1820 ; 4-byte Folded Spill
	buffer_store_dword v18, off, s[0:3], 0 offset:1824 ; 4-byte Folded Spill
	buffer_store_dword v19, off, s[0:3], 0 offset:1828 ; 4-byte Folded Spill
	buffer_store_dword v20, off, s[0:3], 0 offset:1832 ; 4-byte Folded Spill
	buffer_store_dword v21, off, s[0:3], 0 offset:1836 ; 4-byte Folded Spill
	buffer_store_dword v22, off, s[0:3], 0 offset:1840 ; 4-byte Folded Spill
	buffer_store_dword v23, off, s[0:3], 0 offset:1844 ; 4-byte Folded Spill
	buffer_store_dword v24, off, s[0:3], 0 offset:1848 ; 4-byte Folded Spill
	buffer_store_dword v25, off, s[0:3], 0 offset:1852 ; 4-byte Folded Spill
	buffer_store_dword v26, off, s[0:3], 0 offset:1856 ; 4-byte Folded Spill
	buffer_store_dword v27, off, s[0:3], 0 offset:1860 ; 4-byte Folded Spill
	buffer_store_dword v28, off, s[0:3], 0 offset:1864 ; 4-byte Folded Spill
	buffer_store_dword v29, off, s[0:3], 0 offset:1868 ; 4-byte Folded Spill
	buffer_store_dword v30, off, s[0:3], 0 offset:1872 ; 4-byte Folded Spill
	buffer_store_dword v31, off, s[0:3], 0 offset:1876 ; 4-byte Folded Spill
	buffer_store_dword v32, off, s[0:3], 0 offset:1880 ; 4-byte Folded Spill
	buffer_store_dword v33, off, s[0:3], 0 offset:1884 ; 4-byte Folded Spill
	v_cndmask_b32_e64 v12, v31, v46, s[8:9]
	;; [unrolled: 34-line block ×3, first 2 shown]
	v_accvgpr_write_b32 a11, v15
	v_cndmask_b32_e64 v12, v30, v46, s[10:11]
	buffer_store_dword v2, off, s[0:3], 0 offset:1504 ; 4-byte Folded Spill
	s_nop 0
	buffer_store_dword v3, off, s[0:3], 0 offset:1508 ; 4-byte Folded Spill
	buffer_store_dword v4, off, s[0:3], 0 offset:1512 ; 4-byte Folded Spill
	buffer_store_dword v5, off, s[0:3], 0 offset:1516 ; 4-byte Folded Spill
	buffer_store_dword v6, off, s[0:3], 0 offset:1520 ; 4-byte Folded Spill
	buffer_store_dword v7, off, s[0:3], 0 offset:1524 ; 4-byte Folded Spill
	buffer_store_dword v8, off, s[0:3], 0 offset:1528 ; 4-byte Folded Spill
	buffer_store_dword v9, off, s[0:3], 0 offset:1532 ; 4-byte Folded Spill
	buffer_store_dword v10, off, s[0:3], 0 offset:1536 ; 4-byte Folded Spill
	buffer_store_dword v11, off, s[0:3], 0 offset:1540 ; 4-byte Folded Spill
	buffer_store_dword v12, off, s[0:3], 0 offset:1544 ; 4-byte Folded Spill
	buffer_store_dword v13, off, s[0:3], 0 offset:1548 ; 4-byte Folded Spill
	buffer_store_dword v14, off, s[0:3], 0 offset:1552 ; 4-byte Folded Spill
	buffer_store_dword v15, off, s[0:3], 0 offset:1556 ; 4-byte Folded Spill
	buffer_store_dword v16, off, s[0:3], 0 offset:1560 ; 4-byte Folded Spill
	buffer_store_dword v17, off, s[0:3], 0 offset:1564 ; 4-byte Folded Spill
	buffer_store_dword v18, off, s[0:3], 0 offset:1568 ; 4-byte Folded Spill
	buffer_store_dword v19, off, s[0:3], 0 offset:1572 ; 4-byte Folded Spill
	buffer_store_dword v20, off, s[0:3], 0 offset:1576 ; 4-byte Folded Spill
	buffer_store_dword v21, off, s[0:3], 0 offset:1580 ; 4-byte Folded Spill
	buffer_store_dword v22, off, s[0:3], 0 offset:1584 ; 4-byte Folded Spill
	buffer_store_dword v23, off, s[0:3], 0 offset:1588 ; 4-byte Folded Spill
	buffer_store_dword v24, off, s[0:3], 0 offset:1592 ; 4-byte Folded Spill
	buffer_store_dword v25, off, s[0:3], 0 offset:1596 ; 4-byte Folded Spill
	buffer_store_dword v26, off, s[0:3], 0 offset:1600 ; 4-byte Folded Spill
	buffer_store_dword v27, off, s[0:3], 0 offset:1604 ; 4-byte Folded Spill
	buffer_store_dword v28, off, s[0:3], 0 offset:1608 ; 4-byte Folded Spill
	buffer_store_dword v29, off, s[0:3], 0 offset:1612 ; 4-byte Folded Spill
	buffer_store_dword v30, off, s[0:3], 0 offset:1616 ; 4-byte Folded Spill
	buffer_store_dword v31, off, s[0:3], 0 offset:1620 ; 4-byte Folded Spill
	buffer_store_dword v32, off, s[0:3], 0 offset:1624 ; 4-byte Folded Spill
	buffer_store_dword v33, off, s[0:3], 0 offset:1628 ; 4-byte Folded Spill
	v_cndmask_b32_e64 v17, v70, v49, s[12:13]
	buffer_store_dword v0, off, s[0:3], 0 offset:736 ; 4-byte Folded Spill
	s_nop 0
	buffer_store_dword v1, off, s[0:3], 0 offset:740 ; 4-byte Folded Spill
	buffer_store_dword v2, off, s[0:3], 0 offset:744 ; 4-byte Folded Spill
	buffer_store_dword v3, off, s[0:3], 0 offset:748 ; 4-byte Folded Spill
	buffer_store_dword v4, off, s[0:3], 0 offset:752 ; 4-byte Folded Spill
	buffer_store_dword v5, off, s[0:3], 0 offset:756 ; 4-byte Folded Spill
	buffer_store_dword v6, off, s[0:3], 0 offset:760 ; 4-byte Folded Spill
	buffer_store_dword v7, off, s[0:3], 0 offset:764 ; 4-byte Folded Spill
	buffer_store_dword v8, off, s[0:3], 0 offset:768 ; 4-byte Folded Spill
	buffer_store_dword v9, off, s[0:3], 0 offset:772 ; 4-byte Folded Spill
	buffer_store_dword v10, off, s[0:3], 0 offset:776 ; 4-byte Folded Spill
	buffer_store_dword v11, off, s[0:3], 0 offset:780 ; 4-byte Folded Spill
	buffer_store_dword v12, off, s[0:3], 0 offset:784 ; 4-byte Folded Spill
	buffer_store_dword v13, off, s[0:3], 0 offset:788 ; 4-byte Folded Spill
	buffer_store_dword v14, off, s[0:3], 0 offset:792 ; 4-byte Folded Spill
	buffer_store_dword v15, off, s[0:3], 0 offset:796 ; 4-byte Folded Spill
	buffer_store_dword v16, off, s[0:3], 0 offset:800 ; 4-byte Folded Spill
	buffer_store_dword v17, off, s[0:3], 0 offset:804 ; 4-byte Folded Spill
	buffer_store_dword v18, off, s[0:3], 0 offset:808 ; 4-byte Folded Spill
	buffer_store_dword v19, off, s[0:3], 0 offset:812 ; 4-byte Folded Spill
	buffer_store_dword v20, off, s[0:3], 0 offset:816 ; 4-byte Folded Spill
	buffer_store_dword v21, off, s[0:3], 0 offset:820 ; 4-byte Folded Spill
	buffer_store_dword v22, off, s[0:3], 0 offset:824 ; 4-byte Folded Spill
	buffer_store_dword v23, off, s[0:3], 0 offset:828 ; 4-byte Folded Spill
	buffer_store_dword v24, off, s[0:3], 0 offset:832 ; 4-byte Folded Spill
	buffer_store_dword v25, off, s[0:3], 0 offset:836 ; 4-byte Folded Spill
	buffer_store_dword v26, off, s[0:3], 0 offset:840 ; 4-byte Folded Spill
	buffer_store_dword v27, off, s[0:3], 0 offset:844 ; 4-byte Folded Spill
	buffer_store_dword v28, off, s[0:3], 0 offset:848 ; 4-byte Folded Spill
	buffer_store_dword v29, off, s[0:3], 0 offset:852 ; 4-byte Folded Spill
	buffer_store_dword v30, off, s[0:3], 0 offset:856 ; 4-byte Folded Spill
	buffer_store_dword v31, off, s[0:3], 0 offset:860 ; 4-byte Folded Spill
	;; [unrolled: 34-line block ×3, first 2 shown]
	v_cndmask_b32_e32 v15, v71, v49, vcc
	buffer_store_dword v0, off, s[0:3], 0 offset:992 ; 4-byte Folded Spill
	s_nop 0
	buffer_store_dword v1, off, s[0:3], 0 offset:996 ; 4-byte Folded Spill
	buffer_store_dword v2, off, s[0:3], 0 offset:1000 ; 4-byte Folded Spill
	;; [unrolled: 1-line block ×31, first 2 shown]
	v_cndmask_b32_e32 v14, v67, v48, vcc
	buffer_store_dword v0, off, s[0:3], 0 offset:864 ; 4-byte Folded Spill
	s_nop 0
	buffer_store_dword v1, off, s[0:3], 0 offset:868 ; 4-byte Folded Spill
	buffer_store_dword v2, off, s[0:3], 0 offset:872 ; 4-byte Folded Spill
	;; [unrolled: 1-line block ×31, first 2 shown]
	v_cndmask_b32_e64 v15, v72, v49, s[8:9]
	v_accvgpr_write_b32 a139, v15
	v_cndmask_b32_e64 v15, v73, v49, s[10:11]
	v_accvgpr_write_b32 a151, v15
	v_cndmask_b32_e64 v17, v82, v45, s[12:13]
	v_cndmask_b32_e32 v15, v83, v45, vcc
	v_accvgpr_write_b32 a61, v17
	v_cndmask_b32_e64 v16, v78, v44, s[12:13]
	v_accvgpr_write_b32 a77, v15
	v_cndmask_b32_e64 v29, v84, v45, s[8:9]
	v_cndmask_b32_e64 v31, v85, v45, s[10:11]
.LBB4_106:
	s_or_b64 exec, exec, s[56:57]
	buffer_store_dword v18, off, s[0:3], 0 offset:88
	s_and_saveexec_b64 s[18:19], s[4:5]
	s_cbranch_execz .LBB4_115
; %bb.107:
	s_mov_b64 s[20:21], 0
	v_mov_b32_e32 v12, 0
	s_branch .LBB4_109
.LBB4_108:                              ;   in Loop: Header=BB4_109 Depth=1
	s_or_b64 exec, exec, s[8:9]
	s_waitcnt vmcnt(0)
	v_cmp_gt_i32_e32 vcc, 0, v14
	s_or_b64 s[20:21], vcc, s[20:21]
	v_mov_b32_e32 v36, v14
	s_andn2_b64 exec, exec, s[20:21]
	s_cbranch_execz .LBB4_115
.LBB4_109:                              ; =>This Inner Loop Header: Depth=1
	v_cmp_eq_u32_e32 vcc, 1, v36
	v_cndmask_b32_e32 v14, v33, v251, vcc
	v_cmp_eq_u32_e64 s[4:5], 2, v36
	v_cndmask_b32_e64 v14, v14, v205, s[4:5]
	v_cmp_eq_u32_e64 s[8:9], 3, v36
	v_cndmask_b32_e64 v14, v14, v99, s[8:9]
	;; [unrolled: 2-line block ×5, first 2 shown]
	v_cmp_eq_u32_e64 s[16:17], 7, v36
	v_accvgpr_read_b32 v15, a77
	v_cndmask_b32_e64 v14, v14, v15, s[16:17]
	v_cndmask_b32_e32 v15, v32, v250, vcc
	v_cndmask_b32_e64 v15, v15, v204, s[4:5]
	v_cndmask_b32_e64 v15, v15, v98, s[8:9]
	;; [unrolled: 1-line block ×6, first 2 shown]
	v_cmp_eq_u32_e32 vcc, 8, v36
	v_accvgpr_read_b32 v23, a61
	v_cndmask_b32_e32 v15, v14, v23, vcc
	v_cndmask_b32_e32 v14, v17, v16, vcc
	v_lshl_add_u32 v17, v36, 2, v12
	v_cmp_ngt_f64_e32 vcc, 0, v[14:15]
	buffer_load_dword v14, v17, s[0:3], 0 offen
	s_mov_b64 s[4:5], 0
                                        ; implicit-def: $vgpr15
	s_and_saveexec_b64 s[8:9], vcc
	s_xor_b64 s[8:9], exec, s[8:9]
	s_cbranch_execnz .LBB4_112
; %bb.110:                              ;   in Loop: Header=BB4_109 Depth=1
	s_andn2_saveexec_b64 s[8:9], s[8:9]
	s_cbranch_execnz .LBB4_113
.LBB4_111:                              ;   in Loop: Header=BB4_109 Depth=1
	s_or_b64 exec, exec, s[8:9]
	s_and_saveexec_b64 s[8:9], s[4:5]
	s_cbranch_execz .LBB4_108
	s_branch .LBB4_114
.LBB4_112:                              ;   in Loop: Header=BB4_109 Depth=1
	buffer_load_dword v15, off, s[0:3], 0 offset:88
                                        ; implicit-def: $vgpr17
	s_waitcnt vmcnt(0)
	v_cmp_eq_u32_e32 vcc, -1, v15
	v_mov_b32_e32 v15, 0x58
	s_and_b64 s[4:5], vcc, exec
	s_andn2_saveexec_b64 s[8:9], s[8:9]
	s_cbranch_execz .LBB4_111
.LBB4_113:                              ;   in Loop: Header=BB4_109 Depth=1
	buffer_load_dword v18, off, s[0:3], 0 offset:92
	v_mov_b32_e32 v15, 0x5c
	s_or_b64 s[4:5], s[4:5], exec
	s_waitcnt vmcnt(0)
	buffer_store_dword v18, v17, s[0:3], 0 offen
	s_or_b64 exec, exec, s[8:9]
	s_and_saveexec_b64 s[8:9], s[4:5]
	s_cbranch_execz .LBB4_108
.LBB4_114:                              ;   in Loop: Header=BB4_109 Depth=1
	buffer_store_dword v36, v15, s[0:3], 0 offen
	s_branch .LBB4_108
.LBB4_115:
	s_or_b64 exec, exec, s[18:19]
	s_and_saveexec_b64 s[4:5], s[6:7]
	s_cbranch_execz .LBB4_117
; %bb.116:
	v_max_f64 v[8:9], v[8:9], v[8:9]
	v_max_f64 v[10:11], v[10:11], v[10:11]
	v_mov_b32_e32 v12, 0
	v_min_f64 v[8:9], v[10:11], v[8:9]
	v_lshl_add_u32 v14, v20, 2, v12
	v_cmp_ngt_f64_e32 vcc, 0, v[8:9]
	v_lshl_add_u32 v15, v13, 2, v12
	v_cndmask_b32_e32 v8, -1, v21, vcc
	v_lshl_add_u32 v9, v19, 2, v12
	buffer_store_dword v13, v14, s[0:3], 0 offen
	buffer_store_dword v19, v15, s[0:3], 0 offen
	;; [unrolled: 1-line block ×3, first 2 shown]
.LBB4_117:
	s_or_b64 exec, exec, s[4:5]
	buffer_load_dword v8, off, s[0:3], 0 offset:88
	s_waitcnt vmcnt(0)
	v_cmp_lt_i32_e32 vcc, -1, v8
	s_and_saveexec_b64 s[20:21], vcc
	s_cbranch_execz .LBB4_121
; %bb.118:
	buffer_load_dword v148, off, s[0:3], 0 offset:224 ; 4-byte Folded Reload
	buffer_load_dword v149, off, s[0:3], 0 offset:228 ; 4-byte Folded Reload
	;; [unrolled: 1-line block ×32, first 2 shown]
	s_mov_b64 s[22:23], 0
	v_mov_b32_e32 v9, 0
	v_mov_b32_e32 v10, v8
	v_accvgpr_read_b32 v27, a139
	v_accvgpr_read_b32 v29, a151
	;; [unrolled: 1-line block ×5, first 2 shown]
	s_waitcnt vmcnt(24)
	v_pk_mov_b32 v[16:17], v[154:155], v[154:155] op_sel:[0,1]
	buffer_load_dword v148, off, s[0:3], 0 offset:96 ; 4-byte Folded Reload
	buffer_load_dword v149, off, s[0:3], 0 offset:100 ; 4-byte Folded Reload
	;; [unrolled: 1-line block ×32, first 2 shown]
	s_waitcnt vmcnt(22)
	v_pk_mov_b32 v[18:19], v[156:157], v[156:157] op_sel:[0,1]
	buffer_load_dword v148, off, s[0:3], 0 offset:352 ; 4-byte Folded Reload
	buffer_load_dword v149, off, s[0:3], 0 offset:356 ; 4-byte Folded Reload
	buffer_load_dword v150, off, s[0:3], 0 offset:360 ; 4-byte Folded Reload
	buffer_load_dword v151, off, s[0:3], 0 offset:364 ; 4-byte Folded Reload
	buffer_load_dword v152, off, s[0:3], 0 offset:368 ; 4-byte Folded Reload
	buffer_load_dword v153, off, s[0:3], 0 offset:372 ; 4-byte Folded Reload
	buffer_load_dword v154, off, s[0:3], 0 offset:376 ; 4-byte Folded Reload
	buffer_load_dword v155, off, s[0:3], 0 offset:380 ; 4-byte Folded Reload
	buffer_load_dword v156, off, s[0:3], 0 offset:384 ; 4-byte Folded Reload
	buffer_load_dword v157, off, s[0:3], 0 offset:388 ; 4-byte Folded Reload
	buffer_load_dword v158, off, s[0:3], 0 offset:392 ; 4-byte Folded Reload
	buffer_load_dword v159, off, s[0:3], 0 offset:396 ; 4-byte Folded Reload
	buffer_load_dword v160, off, s[0:3], 0 offset:400 ; 4-byte Folded Reload
	buffer_load_dword v161, off, s[0:3], 0 offset:404 ; 4-byte Folded Reload
	buffer_load_dword v162, off, s[0:3], 0 offset:408 ; 4-byte Folded Reload
	buffer_load_dword v163, off, s[0:3], 0 offset:412 ; 4-byte Folded Reload
	buffer_load_dword v164, off, s[0:3], 0 offset:416 ; 4-byte Folded Reload
	buffer_load_dword v165, off, s[0:3], 0 offset:420 ; 4-byte Folded Reload
	buffer_load_dword v166, off, s[0:3], 0 offset:424 ; 4-byte Folded Reload
	buffer_load_dword v167, off, s[0:3], 0 offset:428 ; 4-byte Folded Reload
	buffer_load_dword v168, off, s[0:3], 0 offset:432 ; 4-byte Folded Reload
	buffer_load_dword v169, off, s[0:3], 0 offset:436 ; 4-byte Folded Reload
	buffer_load_dword v170, off, s[0:3], 0 offset:440 ; 4-byte Folded Reload
	buffer_load_dword v171, off, s[0:3], 0 offset:444 ; 4-byte Folded Reload
	buffer_load_dword v172, off, s[0:3], 0 offset:448 ; 4-byte Folded Reload
	buffer_load_dword v173, off, s[0:3], 0 offset:452 ; 4-byte Folded Reload
	buffer_load_dword v174, off, s[0:3], 0 offset:456 ; 4-byte Folded Reload
	buffer_load_dword v175, off, s[0:3], 0 offset:460 ; 4-byte Folded Reload
	buffer_load_dword v176, off, s[0:3], 0 offset:464 ; 4-byte Folded Reload
	buffer_load_dword v177, off, s[0:3], 0 offset:468 ; 4-byte Folded Reload
	buffer_load_dword v178, off, s[0:3], 0 offset:472 ; 4-byte Folded Reload
	buffer_load_dword v179, off, s[0:3], 0 offset:476 ; 4-byte Folded Reload
	buffer_load_dword v42, off, s[0:3], 0 offset:736 ; 4-byte Folded Reload
	buffer_load_dword v43, off, s[0:3], 0 offset:740 ; 4-byte Folded Reload
	buffer_load_dword v44, off, s[0:3], 0 offset:744 ; 4-byte Folded Reload
	buffer_load_dword v45, off, s[0:3], 0 offset:748 ; 4-byte Folded Reload
	buffer_load_dword v46, off, s[0:3], 0 offset:752 ; 4-byte Folded Reload
	buffer_load_dword v47, off, s[0:3], 0 offset:756 ; 4-byte Folded Reload
	buffer_load_dword v48, off, s[0:3], 0 offset:760 ; 4-byte Folded Reload
	buffer_load_dword v49, off, s[0:3], 0 offset:764 ; 4-byte Folded Reload
	buffer_load_dword v50, off, s[0:3], 0 offset:768 ; 4-byte Folded Reload
	buffer_load_dword v51, off, s[0:3], 0 offset:772 ; 4-byte Folded Reload
	buffer_load_dword v52, off, s[0:3], 0 offset:776 ; 4-byte Folded Reload
	buffer_load_dword v53, off, s[0:3], 0 offset:780 ; 4-byte Folded Reload
	buffer_load_dword v54, off, s[0:3], 0 offset:784 ; 4-byte Folded Reload
	buffer_load_dword v55, off, s[0:3], 0 offset:788 ; 4-byte Folded Reload
	buffer_load_dword v56, off, s[0:3], 0 offset:792 ; 4-byte Folded Reload
	buffer_load_dword v57, off, s[0:3], 0 offset:796 ; 4-byte Folded Reload
	buffer_load_dword v58, off, s[0:3], 0 offset:800 ; 4-byte Folded Reload
	buffer_load_dword v59, off, s[0:3], 0 offset:804 ; 4-byte Folded Reload
	buffer_load_dword v60, off, s[0:3], 0 offset:808 ; 4-byte Folded Reload
	buffer_load_dword v61, off, s[0:3], 0 offset:812 ; 4-byte Folded Reload
	buffer_load_dword v62, off, s[0:3], 0 offset:816 ; 4-byte Folded Reload
	buffer_load_dword v63, off, s[0:3], 0 offset:820 ; 4-byte Folded Reload
	buffer_load_dword v64, off, s[0:3], 0 offset:824 ; 4-byte Folded Reload
	buffer_load_dword v65, off, s[0:3], 0 offset:828 ; 4-byte Folded Reload
	buffer_load_dword v66, off, s[0:3], 0 offset:832 ; 4-byte Folded Reload
	buffer_load_dword v67, off, s[0:3], 0 offset:836 ; 4-byte Folded Reload
	buffer_load_dword v68, off, s[0:3], 0 offset:840 ; 4-byte Folded Reload
	buffer_load_dword v69, off, s[0:3], 0 offset:844 ; 4-byte Folded Reload
	buffer_load_dword v70, off, s[0:3], 0 offset:848 ; 4-byte Folded Reload
	buffer_load_dword v71, off, s[0:3], 0 offset:852 ; 4-byte Folded Reload
	buffer_load_dword v72, off, s[0:3], 0 offset:856 ; 4-byte Folded Reload
	buffer_load_dword v73, off, s[0:3], 0 offset:860 ; 4-byte Folded Reload
	s_waitcnt vmcnt(56)
	v_pk_mov_b32 v[20:21], v[154:155], v[154:155] op_sel:[0,1]
	s_waitcnt vmcnt(14)
	v_mov_b32_e32 v23, v59
	buffer_load_dword v42, off, s[0:3], 0 offset:992 ; 4-byte Folded Reload
	buffer_load_dword v43, off, s[0:3], 0 offset:996 ; 4-byte Folded Reload
	;; [unrolled: 1-line block ×64, first 2 shown]
	s_waitcnt vmcnt(48)
	v_mov_b32_e32 v25, v57
	buffer_load_dword v42, off, s[0:3], 0 offset:864 ; 4-byte Folded Reload
	buffer_load_dword v43, off, s[0:3], 0 offset:868 ; 4-byte Folded Reload
	;; [unrolled: 1-line block ×32, first 2 shown]
	s_waitcnt vmcnt(47)
	v_mov_b32_e32 v22, v164
	s_waitcnt vmcnt(17)
	v_mov_b32_e32 v24, v56
	buffer_load_dword v42, off, s[0:3], 0 offset:1120 ; 4-byte Folded Reload
	buffer_load_dword v43, off, s[0:3], 0 offset:1124 ; 4-byte Folded Reload
	buffer_load_dword v44, off, s[0:3], 0 offset:1128 ; 4-byte Folded Reload
	buffer_load_dword v45, off, s[0:3], 0 offset:1132 ; 4-byte Folded Reload
	buffer_load_dword v46, off, s[0:3], 0 offset:1136 ; 4-byte Folded Reload
	buffer_load_dword v47, off, s[0:3], 0 offset:1140 ; 4-byte Folded Reload
	buffer_load_dword v48, off, s[0:3], 0 offset:1144 ; 4-byte Folded Reload
	buffer_load_dword v49, off, s[0:3], 0 offset:1148 ; 4-byte Folded Reload
	buffer_load_dword v50, off, s[0:3], 0 offset:1152 ; 4-byte Folded Reload
	buffer_load_dword v51, off, s[0:3], 0 offset:1156 ; 4-byte Folded Reload
	buffer_load_dword v52, off, s[0:3], 0 offset:1160 ; 4-byte Folded Reload
	buffer_load_dword v53, off, s[0:3], 0 offset:1164 ; 4-byte Folded Reload
	buffer_load_dword v54, off, s[0:3], 0 offset:1168 ; 4-byte Folded Reload
	buffer_load_dword v55, off, s[0:3], 0 offset:1172 ; 4-byte Folded Reload
	buffer_load_dword v56, off, s[0:3], 0 offset:1176 ; 4-byte Folded Reload
	buffer_load_dword v57, off, s[0:3], 0 offset:1180 ; 4-byte Folded Reload
	buffer_load_dword v58, off, s[0:3], 0 offset:1184 ; 4-byte Folded Reload
	buffer_load_dword v59, off, s[0:3], 0 offset:1188 ; 4-byte Folded Reload
	buffer_load_dword v60, off, s[0:3], 0 offset:1192 ; 4-byte Folded Reload
	buffer_load_dword v61, off, s[0:3], 0 offset:1196 ; 4-byte Folded Reload
	buffer_load_dword v62, off, s[0:3], 0 offset:1200 ; 4-byte Folded Reload
	buffer_load_dword v63, off, s[0:3], 0 offset:1204 ; 4-byte Folded Reload
	buffer_load_dword v64, off, s[0:3], 0 offset:1208 ; 4-byte Folded Reload
	buffer_load_dword v65, off, s[0:3], 0 offset:1212 ; 4-byte Folded Reload
	buffer_load_dword v66, off, s[0:3], 0 offset:1216 ; 4-byte Folded Reload
	buffer_load_dword v67, off, s[0:3], 0 offset:1220 ; 4-byte Folded Reload
	buffer_load_dword v68, off, s[0:3], 0 offset:1224 ; 4-byte Folded Reload
	buffer_load_dword v69, off, s[0:3], 0 offset:1228 ; 4-byte Folded Reload
	buffer_load_dword v70, off, s[0:3], 0 offset:1232 ; 4-byte Folded Reload
	buffer_load_dword v71, off, s[0:3], 0 offset:1236 ; 4-byte Folded Reload
	buffer_load_dword v72, off, s[0:3], 0 offset:1240 ; 4-byte Folded Reload
	buffer_load_dword v73, off, s[0:3], 0 offset:1244 ; 4-byte Folded Reload
	s_waitcnt vmcnt(14)
	v_mov_b32_e32 v31, v59
	buffer_load_dword v42, off, s[0:3], 0 offset:1632 ; 4-byte Folded Reload
	buffer_load_dword v43, off, s[0:3], 0 offset:1636 ; 4-byte Folded Reload
	buffer_load_dword v44, off, s[0:3], 0 offset:1640 ; 4-byte Folded Reload
	buffer_load_dword v45, off, s[0:3], 0 offset:1644 ; 4-byte Folded Reload
	buffer_load_dword v46, off, s[0:3], 0 offset:1648 ; 4-byte Folded Reload
	buffer_load_dword v47, off, s[0:3], 0 offset:1652 ; 4-byte Folded Reload
	buffer_load_dword v48, off, s[0:3], 0 offset:1656 ; 4-byte Folded Reload
	buffer_load_dword v49, off, s[0:3], 0 offset:1660 ; 4-byte Folded Reload
	buffer_load_dword v50, off, s[0:3], 0 offset:1664 ; 4-byte Folded Reload
	buffer_load_dword v51, off, s[0:3], 0 offset:1668 ; 4-byte Folded Reload
	buffer_load_dword v52, off, s[0:3], 0 offset:1672 ; 4-byte Folded Reload
	buffer_load_dword v53, off, s[0:3], 0 offset:1676 ; 4-byte Folded Reload
	buffer_load_dword v54, off, s[0:3], 0 offset:1680 ; 4-byte Folded Reload
	buffer_load_dword v55, off, s[0:3], 0 offset:1684 ; 4-byte Folded Reload
	buffer_load_dword v56, off, s[0:3], 0 offset:1688 ; 4-byte Folded Reload
	buffer_load_dword v57, off, s[0:3], 0 offset:1692 ; 4-byte Folded Reload
	buffer_load_dword v58, off, s[0:3], 0 offset:1696 ; 4-byte Folded Reload
	buffer_load_dword v59, off, s[0:3], 0 offset:1700 ; 4-byte Folded Reload
	buffer_load_dword v60, off, s[0:3], 0 offset:1704 ; 4-byte Folded Reload
	buffer_load_dword v61, off, s[0:3], 0 offset:1708 ; 4-byte Folded Reload
	buffer_load_dword v62, off, s[0:3], 0 offset:1712 ; 4-byte Folded Reload
	buffer_load_dword v63, off, s[0:3], 0 offset:1716 ; 4-byte Folded Reload
	buffer_load_dword v64, off, s[0:3], 0 offset:1720 ; 4-byte Folded Reload
	buffer_load_dword v65, off, s[0:3], 0 offset:1724 ; 4-byte Folded Reload
	buffer_load_dword v66, off, s[0:3], 0 offset:1728 ; 4-byte Folded Reload
	buffer_load_dword v67, off, s[0:3], 0 offset:1732 ; 4-byte Folded Reload
	buffer_load_dword v68, off, s[0:3], 0 offset:1736 ; 4-byte Folded Reload
	buffer_load_dword v69, off, s[0:3], 0 offset:1740 ; 4-byte Folded Reload
	buffer_load_dword v70, off, s[0:3], 0 offset:1744 ; 4-byte Folded Reload
	buffer_load_dword v71, off, s[0:3], 0 offset:1748 ; 4-byte Folded Reload
	buffer_load_dword v72, off, s[0:3], 0 offset:1752 ; 4-byte Folded Reload
	buffer_load_dword v73, off, s[0:3], 0 offset:1756 ; 4-byte Folded Reload
	;; [unrolled: 34-line block ×5, first 2 shown]
	s_waitcnt vmcnt(22)
	v_pk_mov_b32 v[38:39], v[50:51], v[50:51] op_sel:[0,1]
	buffer_load_dword v42, off, s[0:3], 0 offset:1376 ; 4-byte Folded Reload
	buffer_load_dword v43, off, s[0:3], 0 offset:1380 ; 4-byte Folded Reload
	;; [unrolled: 1-line block ×32, first 2 shown]
	s_waitcnt vmcnt(19)
	v_mov_b32_e32 v30, v54
	buffer_load_dword v42, off, s[0:3], 0 offset:1504 ; 4-byte Folded Reload
	buffer_load_dword v43, off, s[0:3], 0 offset:1508 ; 4-byte Folded Reload
	;; [unrolled: 1-line block ×32, first 2 shown]
	s_waitcnt vmcnt(21)
	v_mov_b32_e32 v32, v52
	buffer_load_dword v42, off, s[0:3], 0 offset:2016 ; 4-byte Folded Reload
	buffer_load_dword v43, off, s[0:3], 0 offset:2020 ; 4-byte Folded Reload
	;; [unrolled: 1-line block ×64, first 2 shown]
	s_waitcnt vmcnt(60)
	v_accvgpr_read_b32 v45, a105
	s_waitcnt vmcnt(58)
	v_accvgpr_read_b32 v47, a165
	;; [unrolled: 2-line block ×3, first 2 shown]
	v_accvgpr_read_b32 v42, a198
	v_accvgpr_read_b32 v44, a210
	s_waitcnt vmcnt(46)
	v_mov_b32_e32 v43, v59
	s_waitcnt vmcnt(15)
	v_mov_b32_e32 v34, v164
.LBB4_119:                              ; =>This Inner Loop Header: Depth=1
	v_cmp_eq_u32_e32 vcc, 1, v10
	v_cmp_eq_u32_e64 s[4:5], 2, v10
	v_cmp_eq_u32_e64 s[6:7], 3, v10
	;; [unrolled: 1-line block ×8, first 2 shown]
	v_lshl_add_u32 v10, v10, 2, v9
	buffer_load_dword v10, v10, s[0:3], 0 offen
	v_cndmask_b32_e32 v11, v113, v109, vcc
	v_cndmask_b32_e64 v11, v11, v107, s[4:5]
	v_cndmask_b32_e64 v11, v11, v17, s[6:7]
	;; [unrolled: 1-line block ×5, first 2 shown]
	v_cndmask_b32_e32 v12, v112, v108, vcc
	v_cndmask_b32_e64 v11, v11, v45, s[14:15]
	v_cndmask_b32_e64 v12, v12, v106, s[4:5]
	;; [unrolled: 1-line block ×3, first 2 shown]
	v_cndmask_b32_e32 v11, v119, v117, vcc
	v_cndmask_b32_e32 v14, v118, v116, vcc
	v_cndmask_b32_e64 v12, v12, v16, s[6:7]
	v_cndmask_b32_e64 v11, v11, v115, s[4:5]
	v_cndmask_b32_e64 v14, v14, v114, s[4:5]
	v_cndmask_b32_e64 v12, v12, v18, s[8:9]
	v_cndmask_b32_e64 v11, v11, v21, s[6:7]
	v_cndmask_b32_e64 v14, v14, v20, s[6:7]
	v_cndmask_b32_e64 v12, v12, v44, s[10:11]
	v_cndmask_b32_e64 v11, v11, v39, s[8:9]
	v_cndmask_b32_e64 v14, v14, v38, s[8:9]
	v_cndmask_b32_e64 v12, v12, v42, s[12:13]
	v_cndmask_b32_e64 v11, v11, v37, s[10:11]
	v_cndmask_b32_e64 v14, v14, v32, s[10:11]
	v_cndmask_b32_e64 v12, v12, v36, s[14:15]
	v_cndmask_b32_e64 v11, v11, v35, s[12:13]
	v_cndmask_b32_e64 v14, v14, v30, s[12:13]
	v_cndmask_b32_e64 v12, v12, v34, s[16:17]
	v_cndmask_b32_e64 v11, v11, v33, s[14:15]
	v_cndmask_b32_e64 v14, v14, v28, s[14:15]
	v_cndmask_b32_e64 v15, v11, v31, s[16:17]
	v_cndmask_b32_e64 v14, v14, v26, s[16:17]
	v_add_f64 v[12:13], -v[12:13], 1.0
	v_add_f64 v[12:13], v[12:13], -v[14:15]
	v_cndmask_b32_e32 v249, v249, v13, vcc
	v_cndmask_b32_e32 v248, v248, v12, vcc
	v_cndmask_b32_e64 v23, v23, v13, s[16:17]
	v_cndmask_b32_e64 v22, v22, v12, s[16:17]
	;; [unrolled: 1-line block ×16, first 2 shown]
	s_waitcnt vmcnt(0)
	v_cmp_gt_i32_e32 vcc, 0, v10
	s_or_b64 s[22:23], vcc, s[22:23]
	s_andn2_b64 exec, exec, s[22:23]
	s_cbranch_execnz .LBB4_119
; %bb.120:
	s_or_b64 exec, exec, s[22:23]
	buffer_store_dword v10, off, s[0:3], 0 offset:864 ; 4-byte Folded Spill
	s_nop 0
	buffer_store_dword v11, off, s[0:3], 0 offset:868 ; 4-byte Folded Spill
	buffer_store_dword v12, off, s[0:3], 0 offset:872 ; 4-byte Folded Spill
	;; [unrolled: 1-line block ×32, first 2 shown]
	s_nop 0
	buffer_store_dword v7, off, s[0:3], 0 offset:484 ; 4-byte Folded Spill
	buffer_store_dword v8, off, s[0:3], 0 offset:488 ; 4-byte Folded Spill
	;; [unrolled: 1-line block ×31, first 2 shown]
	v_accvgpr_write_b32 a151, v29
	v_accvgpr_write_b32 a139, v27
	buffer_store_dword v10, off, s[0:3], 0 offset:992 ; 4-byte Folded Spill
	s_nop 0
	buffer_store_dword v11, off, s[0:3], 0 offset:996 ; 4-byte Folded Spill
	buffer_store_dword v12, off, s[0:3], 0 offset:1000 ; 4-byte Folded Spill
	;; [unrolled: 1-line block ×32, first 2 shown]
	s_nop 0
	buffer_store_dword v7, off, s[0:3], 0 offset:740 ; 4-byte Folded Spill
	buffer_store_dword v8, off, s[0:3], 0 offset:744 ; 4-byte Folded Spill
	;; [unrolled: 1-line block ×31, first 2 shown]
.LBB4_121:
	s_or_b64 exec, exec, s[20:21]
	v_cmp_lt_i32_e32 vcc, -1, v8
	s_and_saveexec_b64 s[18:19], vcc
	s_cbranch_execz .LBB4_127
; %bb.122:
	v_mov_b32_e32 v30, 0
	v_lshl_add_u32 v9, v8, 2, v30
	buffer_load_dword v14, v9, s[0:3], 0 offen
	s_waitcnt vmcnt(0)
	v_lshl_add_u32 v9, v14, 2, v30
	buffer_load_dword v31, v9, s[0:3], 0 offen
	s_waitcnt vmcnt(0)
	v_cmp_lt_i32_e32 vcc, -1, v31
	s_and_saveexec_b64 s[20:21], vcc
	s_cbranch_execz .LBB4_126
; %bb.123:
	buffer_load_dword v148, off, s[0:3], 0 offset:224 ; 4-byte Folded Reload
	buffer_load_dword v149, off, s[0:3], 0 offset:228 ; 4-byte Folded Reload
	;; [unrolled: 1-line block ×32, first 2 shown]
	v_cmp_eq_u32_e32 vcc, 1, v8
	v_cmp_eq_u32_e64 s[4:5], 2, v8
	v_cndmask_b32_e32 v10, v119, v117, vcc
	v_cndmask_b32_e32 v11, v118, v116, vcc
	v_cmp_eq_u32_e64 s[6:7], 3, v8
	v_cndmask_b32_e64 v10, v10, v115, s[4:5]
	v_cndmask_b32_e64 v11, v11, v114, s[4:5]
	v_cmp_eq_u32_e64 s[8:9], 4, v8
	v_cmp_eq_u32_e64 s[10:11], 5, v8
	v_accvgpr_read_b32 v71, a11
	v_cmp_eq_u32_e64 s[12:13], 6, v8
	v_cmp_eq_u32_e64 s[14:15], 7, v8
	;; [unrolled: 1-line block ×3, first 2 shown]
	v_accvgpr_read_b32 v60, a44
	v_cndmask_b32_e32 v9, v113, v109, vcc
	v_cndmask_b32_e32 v8, v112, v108, vcc
	v_cndmask_b32_e32 v13, v252, v248, vcc
	v_cndmask_b32_e64 v9, v9, v107, s[4:5]
	v_cndmask_b32_e64 v8, v8, v106, s[4:5]
	;; [unrolled: 1-line block ×4, first 2 shown]
	v_accvgpr_read_b32 v81, a117
	v_accvgpr_read_b32 v76, a210
	;; [unrolled: 1-line block ×3, first 2 shown]
	v_cndmask_b32_e64 v13, v13, v74, s[8:9]
	v_accvgpr_read_b32 v79, a165
	v_accvgpr_read_b32 v72, a198
	;; [unrolled: 1-line block ×3, first 2 shown]
	v_cndmask_b32_e64 v13, v13, v110, s[10:11]
	v_accvgpr_read_b32 v77, a105
	v_accvgpr_read_b32 v70, a232
	v_cndmask_b32_e64 v13, v13, v146, s[12:13]
	s_mov_b64 s[22:23], 0
	s_waitcnt vmcnt(24)
	v_pk_mov_b32 v[48:49], v[154:155], v[154:155] op_sel:[0,1]
	buffer_load_dword v148, off, s[0:3], 0 offset:96 ; 4-byte Folded Reload
	buffer_load_dword v149, off, s[0:3], 0 offset:100 ; 4-byte Folded Reload
	;; [unrolled: 1-line block ×32, first 2 shown]
	v_cndmask_b32_e64 v9, v9, v49, s[6:7]
	v_cndmask_b32_e64 v8, v8, v48, s[6:7]
	s_waitcnt vmcnt(22)
	v_pk_mov_b32 v[52:53], v[156:157], v[156:157] op_sel:[0,1]
	buffer_load_dword v148, off, s[0:3], 0 offset:2016 ; 4-byte Folded Reload
	buffer_load_dword v149, off, s[0:3], 0 offset:2020 ; 4-byte Folded Reload
	;; [unrolled: 1-line block ×32, first 2 shown]
	v_cndmask_b32_e64 v9, v9, v53, s[8:9]
	v_cndmask_b32_e64 v8, v8, v52, s[8:9]
	;; [unrolled: 1-line block ×8, first 2 shown]
	s_waitcnt vmcnt(14)
	v_mov_b32_e32 v73, v165
	buffer_load_dword v148, off, s[0:3], 0 offset:1888 ; 4-byte Folded Reload
	buffer_load_dword v149, off, s[0:3], 0 offset:1892 ; 4-byte Folded Reload
	;; [unrolled: 1-line block ×32, first 2 shown]
	v_cndmask_b32_e64 v9, v9, v73, s[16:17]
	s_waitcnt vmcnt(15)
	v_mov_b32_e32 v68, v164
	buffer_load_dword v148, off, s[0:3], 0 offset:352 ; 4-byte Folded Reload
	buffer_load_dword v149, off, s[0:3], 0 offset:356 ; 4-byte Folded Reload
	;; [unrolled: 1-line block ×32, first 2 shown]
	v_cndmask_b32_e64 v8, v8, v68, s[16:17]
	s_waitcnt vmcnt(24)
	v_pk_mov_b32 v[54:55], v[154:155], v[154:155] op_sel:[0,1]
	buffer_load_dword v148, off, s[0:3], 0 offset:608 ; 4-byte Folded Reload
	buffer_load_dword v149, off, s[0:3], 0 offset:612 ; 4-byte Folded Reload
	;; [unrolled: 1-line block ×32, first 2 shown]
	v_cndmask_b32_e64 v10, v10, v55, s[6:7]
	v_cndmask_b32_e64 v11, v11, v54, s[6:7]
	s_waitcnt vmcnt(22)
	v_pk_mov_b32 v[50:51], v[156:157], v[156:157] op_sel:[0,1]
	buffer_load_dword v148, off, s[0:3], 0 offset:1760 ; 4-byte Folded Reload
	buffer_load_dword v149, off, s[0:3], 0 offset:1764 ; 4-byte Folded Reload
	;; [unrolled: 1-line block ×32, first 2 shown]
	v_cndmask_b32_e64 v10, v10, v51, s[8:9]
	v_cndmask_b32_e64 v11, v11, v50, s[8:9]
	;; [unrolled: 1-line block ×3, first 2 shown]
	s_waitcnt vmcnt(18)
	v_mov_b32_e32 v69, v161
	buffer_load_dword v148, off, s[0:3], 0 offset:1632 ; 4-byte Folded Reload
	buffer_load_dword v149, off, s[0:3], 0 offset:1636 ; 4-byte Folded Reload
	buffer_load_dword v150, off, s[0:3], 0 offset:1640 ; 4-byte Folded Reload
	buffer_load_dword v151, off, s[0:3], 0 offset:1644 ; 4-byte Folded Reload
	buffer_load_dword v152, off, s[0:3], 0 offset:1648 ; 4-byte Folded Reload
	buffer_load_dword v153, off, s[0:3], 0 offset:1652 ; 4-byte Folded Reload
	buffer_load_dword v154, off, s[0:3], 0 offset:1656 ; 4-byte Folded Reload
	buffer_load_dword v155, off, s[0:3], 0 offset:1660 ; 4-byte Folded Reload
	buffer_load_dword v156, off, s[0:3], 0 offset:1664 ; 4-byte Folded Reload
	buffer_load_dword v157, off, s[0:3], 0 offset:1668 ; 4-byte Folded Reload
	buffer_load_dword v158, off, s[0:3], 0 offset:1672 ; 4-byte Folded Reload
	buffer_load_dword v159, off, s[0:3], 0 offset:1676 ; 4-byte Folded Reload
	buffer_load_dword v160, off, s[0:3], 0 offset:1680 ; 4-byte Folded Reload
	buffer_load_dword v161, off, s[0:3], 0 offset:1684 ; 4-byte Folded Reload
	buffer_load_dword v162, off, s[0:3], 0 offset:1688 ; 4-byte Folded Reload
	buffer_load_dword v163, off, s[0:3], 0 offset:1692 ; 4-byte Folded Reload
	buffer_load_dword v164, off, s[0:3], 0 offset:1696 ; 4-byte Folded Reload
	buffer_load_dword v165, off, s[0:3], 0 offset:1700 ; 4-byte Folded Reload
	buffer_load_dword v166, off, s[0:3], 0 offset:1704 ; 4-byte Folded Reload
	buffer_load_dword v167, off, s[0:3], 0 offset:1708 ; 4-byte Folded Reload
	buffer_load_dword v168, off, s[0:3], 0 offset:1712 ; 4-byte Folded Reload
	buffer_load_dword v169, off, s[0:3], 0 offset:1716 ; 4-byte Folded Reload
	buffer_load_dword v170, off, s[0:3], 0 offset:1720 ; 4-byte Folded Reload
	buffer_load_dword v171, off, s[0:3], 0 offset:1724 ; 4-byte Folded Reload
	buffer_load_dword v172, off, s[0:3], 0 offset:1728 ; 4-byte Folded Reload
	buffer_load_dword v173, off, s[0:3], 0 offset:1732 ; 4-byte Folded Reload
	buffer_load_dword v174, off, s[0:3], 0 offset:1736 ; 4-byte Folded Reload
	buffer_load_dword v175, off, s[0:3], 0 offset:1740 ; 4-byte Folded Reload
	buffer_load_dword v176, off, s[0:3], 0 offset:1744 ; 4-byte Folded Reload
	buffer_load_dword v177, off, s[0:3], 0 offset:1748 ; 4-byte Folded Reload
	buffer_load_dword v178, off, s[0:3], 0 offset:1752 ; 4-byte Folded Reload
	buffer_load_dword v179, off, s[0:3], 0 offset:1756 ; 4-byte Folded Reload
	v_cndmask_b32_e64 v10, v10, v69, s[12:13]
	s_waitcnt vmcnt(16)
	v_mov_b32_e32 v67, v163
	buffer_load_dword v148, off, s[0:3], 0 offset:1504 ; 4-byte Folded Reload
	buffer_load_dword v149, off, s[0:3], 0 offset:1508 ; 4-byte Folded Reload
	buffer_load_dword v150, off, s[0:3], 0 offset:1512 ; 4-byte Folded Reload
	buffer_load_dword v151, off, s[0:3], 0 offset:1516 ; 4-byte Folded Reload
	buffer_load_dword v152, off, s[0:3], 0 offset:1520 ; 4-byte Folded Reload
	buffer_load_dword v153, off, s[0:3], 0 offset:1524 ; 4-byte Folded Reload
	buffer_load_dword v154, off, s[0:3], 0 offset:1528 ; 4-byte Folded Reload
	buffer_load_dword v155, off, s[0:3], 0 offset:1532 ; 4-byte Folded Reload
	buffer_load_dword v156, off, s[0:3], 0 offset:1536 ; 4-byte Folded Reload
	buffer_load_dword v157, off, s[0:3], 0 offset:1540 ; 4-byte Folded Reload
	buffer_load_dword v158, off, s[0:3], 0 offset:1544 ; 4-byte Folded Reload
	buffer_load_dword v159, off, s[0:3], 0 offset:1548 ; 4-byte Folded Reload
	buffer_load_dword v160, off, s[0:3], 0 offset:1552 ; 4-byte Folded Reload
	buffer_load_dword v161, off, s[0:3], 0 offset:1556 ; 4-byte Folded Reload
	buffer_load_dword v162, off, s[0:3], 0 offset:1560 ; 4-byte Folded Reload
	buffer_load_dword v163, off, s[0:3], 0 offset:1564 ; 4-byte Folded Reload
	buffer_load_dword v164, off, s[0:3], 0 offset:1568 ; 4-byte Folded Reload
	buffer_load_dword v165, off, s[0:3], 0 offset:1572 ; 4-byte Folded Reload
	buffer_load_dword v166, off, s[0:3], 0 offset:1576 ; 4-byte Folded Reload
	buffer_load_dword v167, off, s[0:3], 0 offset:1580 ; 4-byte Folded Reload
	buffer_load_dword v168, off, s[0:3], 0 offset:1584 ; 4-byte Folded Reload
	buffer_load_dword v169, off, s[0:3], 0 offset:1588 ; 4-byte Folded Reload
	buffer_load_dword v170, off, s[0:3], 0 offset:1592 ; 4-byte Folded Reload
	buffer_load_dword v171, off, s[0:3], 0 offset:1596 ; 4-byte Folded Reload
	buffer_load_dword v172, off, s[0:3], 0 offset:1600 ; 4-byte Folded Reload
	buffer_load_dword v173, off, s[0:3], 0 offset:1604 ; 4-byte Folded Reload
	buffer_load_dword v174, off, s[0:3], 0 offset:1608 ; 4-byte Folded Reload
	buffer_load_dword v175, off, s[0:3], 0 offset:1612 ; 4-byte Folded Reload
	buffer_load_dword v176, off, s[0:3], 0 offset:1616 ; 4-byte Folded Reload
	buffer_load_dword v177, off, s[0:3], 0 offset:1620 ; 4-byte Folded Reload
	buffer_load_dword v178, off, s[0:3], 0 offset:1624 ; 4-byte Folded Reload
	buffer_load_dword v179, off, s[0:3], 0 offset:1628 ; 4-byte Folded Reload
	v_cndmask_b32_e64 v10, v10, v67, s[14:15]
	;; [unrolled: 35-line block ×6, first 2 shown]
	v_cndmask_b32_e64 v10, v12, v60, s[16:17]
	v_cndmask_b32_e32 v12, v253, v249, vcc
	v_cmp_eq_u32_e32 vcc, 1, v14
	v_cndmask_b32_e64 v12, v12, v255, s[4:5]
	v_cmp_eq_u32_e64 s[4:5], 2, v14
	v_cndmask_b32_e32 v16, v113, v109, vcc
	v_cndmask_b32_e32 v17, v112, v108, vcc
	v_cndmask_b32_e64 v12, v12, v41, s[6:7]
	v_cmp_eq_u32_e64 s[6:7], 3, v14
	v_cndmask_b32_e64 v16, v16, v107, s[4:5]
	v_cndmask_b32_e64 v17, v17, v106, s[4:5]
	v_cndmask_b32_e64 v12, v12, v75, s[8:9]
	v_cmp_eq_u32_e64 s[8:9], 4, v14
	v_cndmask_b32_e64 v16, v16, v49, s[6:7]
	v_cndmask_b32_e64 v17, v17, v48, s[6:7]
	;; [unrolled: 4-line block ×4, first 2 shown]
	v_cndmask_b32_e64 v16, v16, v79, s[12:13]
	v_cndmask_b32_e64 v17, v17, v72, s[12:13]
	s_waitcnt vmcnt(16)
	v_mov_b32_e32 v59, v163
	buffer_load_dword v148, off, s[0:3], 0 offset:864 ; 4-byte Folded Reload
	buffer_load_dword v149, off, s[0:3], 0 offset:868 ; 4-byte Folded Reload
	;; [unrolled: 1-line block ×32, first 2 shown]
	v_cndmask_b32_e64 v12, v12, v59, s[14:15]
	s_waitcnt vmcnt(17)
	v_mov_b32_e32 v58, v162
	buffer_load_dword v148, off, s[0:3], 0 offset:736 ; 4-byte Folded Reload
	buffer_load_dword v149, off, s[0:3], 0 offset:740 ; 4-byte Folded Reload
	;; [unrolled: 1-line block ×32, first 2 shown]
	v_cndmask_b32_e64 v15, v13, v58, s[14:15]
	v_cmp_eq_u32_e64 s[14:15], 7, v14
	v_cndmask_b32_e64 v16, v16, v77, s[14:15]
	v_cndmask_b32_e64 v17, v17, v70, s[14:15]
	s_waitcnt vmcnt(14)
	v_mov_b32_e32 v57, v165
	buffer_load_dword v148, off, s[0:3], 0 offset:480 ; 4-byte Folded Reload
	buffer_load_dword v149, off, s[0:3], 0 offset:484 ; 4-byte Folded Reload
	;; [unrolled: 1-line block ×32, first 2 shown]
	v_cndmask_b32_e64 v13, v12, v57, s[16:17]
	s_waitcnt vmcnt(15)
	v_mov_b32_e32 v56, v164
	v_cndmask_b32_e64 v12, v15, v56, s[16:17]
	v_cndmask_b32_e32 v15, v119, v117, vcc
	v_cmp_eq_u32_e64 s[16:17], 8, v14
	v_cndmask_b32_e32 v14, v118, v116, vcc
	v_cndmask_b32_e64 v15, v15, v115, s[4:5]
	v_cndmask_b32_e64 v14, v14, v114, s[4:5]
	v_cndmask_b32_e64 v23, v16, v73, s[16:17]
	v_cndmask_b32_e64 v22, v17, v68, s[16:17]
	v_cndmask_b32_e32 v16, v253, v249, vcc
	v_cndmask_b32_e32 v17, v252, v248, vcc
	v_cndmask_b32_e64 v15, v15, v55, s[6:7]
	v_cndmask_b32_e64 v14, v14, v54, s[6:7]
	;; [unrolled: 1-line block ×26, first 2 shown]
	v_add_f64 v[28:29], v[14:15], -v[10:11]
	v_add_f64 v[26:27], v[22:23], -v[8:9]
	v_mul_f64 v[16:17], v[8:9], v[12:13]
	v_mul_f64 v[18:19], v[10:11], v[12:13]
	;; [unrolled: 1-line block ×3, first 2 shown]
.LBB4_124:                              ; =>This Inner Loop Header: Depth=1
	v_cmp_eq_u32_e32 vcc, 1, v31
	v_cndmask_b32_e32 v32, v113, v109, vcc
	v_cmp_eq_u32_e64 s[4:5], 2, v31
	v_cndmask_b32_e32 v33, v112, v108, vcc
	v_cndmask_b32_e64 v32, v32, v107, s[4:5]
	v_cmp_eq_u32_e64 s[6:7], 3, v31
	v_cndmask_b32_e64 v33, v33, v106, s[4:5]
	v_cndmask_b32_e64 v32, v32, v49, s[6:7]
	v_cmp_eq_u32_e64 s[8:9], 4, v31
	v_cndmask_b32_e64 v33, v33, v48, s[6:7]
	;; [unrolled: 3-line block ×6, first 2 shown]
	v_cndmask_b32_e64 v33, v32, v73, s[16:17]
	v_cndmask_b32_e64 v32, v34, v68, s[16:17]
	v_cndmask_b32_e32 v34, v119, v117, vcc
	v_cndmask_b32_e32 v35, v118, v116, vcc
	v_cndmask_b32_e64 v34, v34, v115, s[4:5]
	v_cndmask_b32_e64 v35, v35, v114, s[4:5]
	;; [unrolled: 1-line block ×14, first 2 shown]
	v_add_f64 v[36:37], v[32:33], -v[8:9]
	v_mul_f64 v[28:29], v[36:37], v[28:29]
	v_add_f64 v[38:39], v[34:35], -v[10:11]
	v_fma_f64 v[26:27], v[38:39], v[26:27], -v[28:29]
	v_cndmask_b32_e32 v28, v253, v249, vcc
	v_cndmask_b32_e32 v29, v252, v248, vcc
	v_cndmask_b32_e64 v28, v28, v255, s[4:5]
	v_cndmask_b32_e64 v29, v29, v254, s[4:5]
	;; [unrolled: 1-line block ×14, first 2 shown]
	v_fma_f64 v[44:45], v[24:25], v[24:25], v[20:21]
	v_fmac_f64_e32 v[44:45], v[42:43], v[42:43]
	v_fmac_f64_e32 v[44:45], v[12:13], v[24:25]
	v_fmac_f64_e32 v[44:45], v[12:13], v[42:43]
	v_add_f64 v[46:47], v[12:13], v[24:25]
	v_add_f64 v[28:29], v[8:9], v[22:23]
	v_fma_f64 v[22:23], v[22:23], v[24:25], v[16:17]
	v_fmac_f64_e32 v[44:45], v[42:43], v[24:25]
	v_fma_f64 v[24:25], v[14:15], v[24:25], v[18:19]
	v_add_f64 v[14:15], v[10:11], v[14:15]
	v_add_f64 v[46:47], v[42:43], v[46:47]
	;; [unrolled: 1-line block ×3, first 2 shown]
	v_fmac_f64_e32 v[6:7], v[46:47], v[26:27]
	v_mul_f64 v[46:47], v[46:47], v[26:27]
	v_mul_f64 v[14:15], v[14:15], v[46:47]
	v_fmac_f64_e32 v[24:25], v[34:35], v[42:43]
	v_fmac_f64_e32 v[14:15], v[24:25], v[26:27]
	v_add_f64 v[2:3], v[2:3], v[14:15]
	v_lshl_add_u32 v14, v31, 2, v30
	buffer_load_dword v31, v14, s[0:3], 0 offen
	v_add_f64 v[28:29], v[28:29], v[32:33]
	v_mul_f64 v[28:29], v[28:29], v[46:47]
	v_fmac_f64_e32 v[22:23], v[42:43], v[32:33]
	v_fmac_f64_e32 v[28:29], v[22:23], v[26:27]
	;; [unrolled: 1-line block ×3, first 2 shown]
	v_add_f64 v[0:1], v[0:1], v[28:29]
	v_pk_mov_b32 v[22:23], v[32:33], v[32:33] op_sel:[0,1]
	v_pk_mov_b32 v[14:15], v[34:35], v[34:35] op_sel:[0,1]
	;; [unrolled: 1-line block ×5, first 2 shown]
	s_waitcnt vmcnt(0)
	v_cmp_gt_i32_e32 vcc, 0, v31
	s_or_b64 s[22:23], vcc, s[22:23]
	s_andn2_b64 exec, exec, s[22:23]
	s_cbranch_execnz .LBB4_124
; %bb.125:
	s_or_b64 exec, exec, s[22:23]
.LBB4_126:
	s_or_b64 exec, exec, s[20:21]
.LBB4_127:
	s_or_b64 exec, exec, s[18:19]
	buffer_load_dword v8, off, s[0:3], 0 offset:2304 ; 4-byte Folded Reload
	buffer_load_dword v9, off, s[0:3], 0 offset:2308 ; 4-byte Folded Reload
	;; [unrolled: 1-line block ×4, first 2 shown]
	s_mov_b32 s5, 0x3fc55555
	s_mov_b32 s4, 0x55555555
	v_mul_f64 v[6:7], v[6:7], s[4:5]
	s_mov_b32 s5, 0x3fa55555
	v_mul_f64 v[0:1], v[0:1], s[4:5]
	v_mul_f64 v[2:3], v[2:3], s[4:5]
	;; [unrolled: 1-line block ×3, first 2 shown]
	v_accvgpr_read_b32 v36, a251            ;  Reload Reuse
	v_accvgpr_read_b32 v37, a250            ;  Reload Reuse
	s_waitcnt vmcnt(2)
	v_mul_f64 v[8:9], v[8:9], v[0:1]
	s_waitcnt vmcnt(0)
	v_fmac_f64_e32 v[8:9], v[10:11], v[6:7]
	buffer_load_dword v10, off, s[0:3], 0 offset:2296 ; 4-byte Folded Reload
	buffer_load_dword v11, off, s[0:3], 0 offset:2300 ; 4-byte Folded Reload
	s_waitcnt vmcnt(0)
	v_fmac_f64_e32 v[8:9], v[10:11], v[2:3]
	buffer_load_dword v10, off, s[0:3], 0 offset:2248 ; 4-byte Folded Reload
	buffer_load_dword v11, off, s[0:3], 0 offset:2252 ; 4-byte Folded Reload
	;; [unrolled: 1-line block ×4, first 2 shown]
	s_waitcnt vmcnt(2)
	v_fmac_f64_e32 v[8:9], v[10:11], v[4:5]
	s_waitcnt vmcnt(0)
	v_mul_f64 v[8:9], v[12:13], v[8:9]
	v_add_f64 v[18:19], v[8:9], 0
	buffer_load_dword v8, off, s[0:3], 0 offset:2288 ; 4-byte Folded Reload
	buffer_load_dword v9, off, s[0:3], 0 offset:2292 ; 4-byte Folded Reload
	;; [unrolled: 1-line block ×8, first 2 shown]
	s_waitcnt vmcnt(6)
	v_mul_f64 v[8:9], v[8:9], v[0:1]
	s_waitcnt vmcnt(2)
	v_fmac_f64_e32 v[8:9], v[16:17], v[6:7]
	s_waitcnt vmcnt(0)
	v_fmac_f64_e32 v[8:9], v[10:11], v[2:3]
	buffer_load_dword v10, off, s[0:3], 0 offset:2240 ; 4-byte Folded Reload
	buffer_load_dword v11, off, s[0:3], 0 offset:2244 ; 4-byte Folded Reload
	v_accvgpr_read_b32 v16, a255            ;  Reload Reuse
	v_accvgpr_read_b32 v17, a254            ;  Reload Reuse
	s_waitcnt vmcnt(0)
	v_fmac_f64_e32 v[8:9], v[10:11], v[4:5]
	v_mul_f64 v[8:9], v[12:13], v[8:9]
	v_add_f64 v[20:21], v[8:9], 0
	buffer_load_dword v8, off, s[0:3], 0 offset:2272 ; 4-byte Folded Reload
	buffer_load_dword v9, off, s[0:3], 0 offset:2276 ; 4-byte Folded Reload
	s_waitcnt vmcnt(0)
	v_mul_f64 v[0:1], v[8:9], v[0:1]
	buffer_load_dword v8, off, s[0:3], 0 offset:2192 ; 4-byte Folded Reload
	buffer_load_dword v9, off, s[0:3], 0 offset:2196 ; 4-byte Folded Reload
	;; [unrolled: 1-line block ×6, first 2 shown]
	s_waitcnt vmcnt(2)
	v_fmac_f64_e32 v[0:1], v[10:11], v[6:7]
	s_waitcnt vmcnt(0)
	v_fmac_f64_e32 v[0:1], v[8:9], v[2:3]
	buffer_load_dword v2, off, s[0:3], 0 offset:2224 ; 4-byte Folded Reload
	buffer_load_dword v3, off, s[0:3], 0 offset:2228 ; 4-byte Folded Reload
	s_waitcnt vmcnt(0)
	v_fmac_f64_e32 v[0:1], v[2:3], v[4:5]
	v_mul_f64 v[0:1], v[12:13], v[0:1]
	v_add_f64 v[22:23], v[0:1], 0
	v_mul_f64 v[0:1], v[12:13], v[6:7]
	v_accvgpr_read_b32 v12, a253            ;  Reload Reuse
	v_add_f64 v[24:25], v[0:1], 0
	v_accvgpr_read_b32 v13, a252            ;  Reload Reuse
.LBB4_128:
	s_or_b64 exec, exec, s[54:55]
	s_movk_i32 s6, 0x48
	v_mad_u64_u32 v[2:3], s[4:5], v16, s6, 0
	v_mov_b32_e32 v4, v3
	v_mad_u64_u32 v[4:5], s[4:5], v17, s6, v[4:5]
	v_and_b32_e32 v0, 0xffffffc0, v36
	v_mov_b32_e32 v1, v13
	v_mov_b32_e32 v3, v4
	v_pk_mov_b32 v[4:5], 0, 0
	v_cmp_gt_i64_e32 vcc, v[2:3], v[0:1]
	v_pk_mov_b32 v[2:3], v[24:25], v[24:25] op_sel:[0,1]
	v_pk_mov_b32 v[6:7], v[18:19], v[18:19] op_sel:[0,1]
	;; [unrolled: 1-line block ×7, first 2 shown]
	s_and_saveexec_b64 s[4:5], vcc
; %bb.129:
	v_pk_mov_b32 v[2:3], 0, 0
	v_pk_mov_b32 v[6:7], v[2:3], v[2:3] op_sel:[0,1]
	v_pk_mov_b32 v[8:9], v[2:3], v[2:3] op_sel:[0,1]
	v_pk_mov_b32 v[10:11], v[2:3], v[2:3] op_sel:[0,1]
	v_pk_mov_b32 v[4:5], v[22:23], v[22:23] op_sel:[0,1]
	v_pk_mov_b32 v[12:13], v[20:21], v[20:21] op_sel:[0,1]
	v_pk_mov_b32 v[14:15], v[18:19], v[18:19] op_sel:[0,1]
	v_pk_mov_b32 v[16:17], v[24:25], v[24:25] op_sel:[0,1]
; %bb.130:
	s_or_b64 exec, exec, s[4:5]
	v_mbcnt_lo_u32_b32 v18, -1, 0
	v_mbcnt_hi_u32_b32 v18, -1, v18
	v_and_b32_e32 v19, 64, v18
	v_add_u32_e32 v19, 64, v19
	s_mov_b64 s[4:5], 1
	s_waitcnt lgkmcnt(0)
	; wave barrier
.LBB4_131:                              ; =>This Inner Loop Header: Depth=1
	v_xor_b32_e32 v20, s4, v18
	v_cmp_lt_i32_e32 vcc, v20, v19
	v_cndmask_b32_e32 v20, v18, v20, vcc
	v_lshlrev_b32_e32 v35, 2, v20
	ds_bpermute_b32 v20, v35, v16
	ds_bpermute_b32 v21, v35, v17
	;; [unrolled: 1-line block ×16, first 2 shown]
	s_lshl_b64 s[6:7], s[4:5], 1
	v_cmp_gt_u64_e64 s[4:5], s[4:5], 31
	s_and_b64 vcc, exec, s[4:5]
	s_mov_b64 s[4:5], s[6:7]
	s_waitcnt lgkmcnt(14)
	v_add_f64 v[16:17], v[16:17], v[20:21]
	s_waitcnt lgkmcnt(12)
	v_add_f64 v[14:15], v[14:15], v[22:23]
	s_waitcnt lgkmcnt(10)
	v_add_f64 v[12:13], v[12:13], v[24:25]
	s_waitcnt lgkmcnt(8)
	v_add_f64 v[4:5], v[4:5], v[26:27]
	s_waitcnt lgkmcnt(6)
	v_add_f64 v[2:3], v[2:3], v[28:29]
	s_waitcnt lgkmcnt(4)
	v_add_f64 v[6:7], v[6:7], v[30:31]
	s_waitcnt lgkmcnt(2)
	v_add_f64 v[8:9], v[8:9], v[32:33]
	s_waitcnt lgkmcnt(0)
	v_add_f64 v[10:11], v[10:11], v[34:35]
	s_cbranch_vccz .LBB4_131
; %bb.132:
	v_and_b32_e32 v18, 63, v36
	v_mov_b32_e32 v19, 0
	v_cmp_eq_u64_e32 vcc, 0, v[18:19]
	s_and_saveexec_b64 s[4:5], vcc
	s_cbranch_execz .LBB4_134
; %bb.133:
	ds_write2_b64 v19, v[2:3], v[6:7] offset1:2
	ds_write2_b64 v19, v[8:9], v[10:11] offset0:4 offset1:6
	ds_write2_b64 v19, v[16:17], v[14:15] offset0:8 offset1:10
	;; [unrolled: 1-line block ×3, first 2 shown]
.LBB4_134:
	s_or_b64 exec, exec, s[4:5]
	v_cmp_gt_u64_e32 vcc, 8, v[18:19]
	s_waitcnt lgkmcnt(0)
	; wave barrier
	s_waitcnt lgkmcnt(0)
	s_and_b64 exec, exec, vcc
	s_cbranch_execz .LBB4_136
; %bb.135:
	v_mov_b32_e32 v2, s53
	v_add_co_u32_e32 v3, vcc, s52, v0
	v_lshlrev_b32_e32 v0, 4, v18
	v_addc_co_u32_e32 v4, vcc, v2, v1, vcc
	ds_read_b64 v[0:1], v0
	v_lshlrev_b32_e32 v2, 3, v18
	v_add_co_u32_e32 v2, vcc, v3, v2
	v_addc_co_u32_e32 v3, vcc, 0, v4, vcc
	s_waitcnt lgkmcnt(0)
	global_store_dwordx2 v[2:3], v[0:1], off
.LBB4_136:
	s_endpgm
	.section	.rodata,"a",@progbits
	.p2align	6, 0x0
	.amdhsa_kernel _ZN4RAJA6policy3hip4impl18forallp_hip_kernelINS1_8hip_execINS_17iteration_mapping6DirectENS_3hip11IndexGlobalILNS_9named_dimE0ELi64ELi0EEENS7_40AvoidDeviceMaxThreadOccupancyConcretizerINS7_34FractionOffsetOccupancyConcretizerINS_8FractionImLm1ELm1EEELln1EEEEELb1EEENS_9Iterators16numeric_iteratorIllPlEEZN8rajaperf4apps12INTSC_HEXHEX17runHipVariantImplILm64EEEvNSM_9VariantIDEEUllE1_lNS_4expt15ForallParamPackIJEEES6_SA_TnNSt9enable_ifIXaasr3std10is_base_ofINS5_10DirectBaseET4_EE5valuegtsrT5_10block_sizeLi0EEmE4typeELm64EEEvT1_T0_T2_T3_
		.amdhsa_group_segment_fixed_size 128
		.amdhsa_private_segment_fixed_size 2320
		.amdhsa_kernarg_size 52
		.amdhsa_user_sgpr_count 8
		.amdhsa_user_sgpr_private_segment_buffer 1
		.amdhsa_user_sgpr_dispatch_ptr 0
		.amdhsa_user_sgpr_queue_ptr 0
		.amdhsa_user_sgpr_kernarg_segment_ptr 1
		.amdhsa_user_sgpr_dispatch_id 0
		.amdhsa_user_sgpr_flat_scratch_init 1
		.amdhsa_user_sgpr_kernarg_preload_length 0
		.amdhsa_user_sgpr_kernarg_preload_offset 0
		.amdhsa_user_sgpr_private_segment_size 0
		.amdhsa_uses_dynamic_stack 0
		.amdhsa_system_sgpr_private_segment_wavefront_offset 1
		.amdhsa_system_sgpr_workgroup_id_x 1
		.amdhsa_system_sgpr_workgroup_id_y 0
		.amdhsa_system_sgpr_workgroup_id_z 0
		.amdhsa_system_sgpr_workgroup_info 0
		.amdhsa_system_vgpr_workitem_id 0
		.amdhsa_next_free_vgpr 512
		.amdhsa_next_free_sgpr 58
		.amdhsa_accum_offset 256
		.amdhsa_reserve_vcc 1
		.amdhsa_reserve_flat_scratch 0
		.amdhsa_float_round_mode_32 0
		.amdhsa_float_round_mode_16_64 0
		.amdhsa_float_denorm_mode_32 3
		.amdhsa_float_denorm_mode_16_64 3
		.amdhsa_dx10_clamp 1
		.amdhsa_ieee_mode 1
		.amdhsa_fp16_overflow 0
		.amdhsa_tg_split 0
		.amdhsa_exception_fp_ieee_invalid_op 0
		.amdhsa_exception_fp_denorm_src 0
		.amdhsa_exception_fp_ieee_div_zero 0
		.amdhsa_exception_fp_ieee_overflow 0
		.amdhsa_exception_fp_ieee_underflow 0
		.amdhsa_exception_fp_ieee_inexact 0
		.amdhsa_exception_int_div_zero 0
	.end_amdhsa_kernel
	.section	.text._ZN4RAJA6policy3hip4impl18forallp_hip_kernelINS1_8hip_execINS_17iteration_mapping6DirectENS_3hip11IndexGlobalILNS_9named_dimE0ELi64ELi0EEENS7_40AvoidDeviceMaxThreadOccupancyConcretizerINS7_34FractionOffsetOccupancyConcretizerINS_8FractionImLm1ELm1EEELln1EEEEELb1EEENS_9Iterators16numeric_iteratorIllPlEEZN8rajaperf4apps12INTSC_HEXHEX17runHipVariantImplILm64EEEvNSM_9VariantIDEEUllE1_lNS_4expt15ForallParamPackIJEEES6_SA_TnNSt9enable_ifIXaasr3std10is_base_ofINS5_10DirectBaseET4_EE5valuegtsrT5_10block_sizeLi0EEmE4typeELm64EEEvT1_T0_T2_T3_,"axG",@progbits,_ZN4RAJA6policy3hip4impl18forallp_hip_kernelINS1_8hip_execINS_17iteration_mapping6DirectENS_3hip11IndexGlobalILNS_9named_dimE0ELi64ELi0EEENS7_40AvoidDeviceMaxThreadOccupancyConcretizerINS7_34FractionOffsetOccupancyConcretizerINS_8FractionImLm1ELm1EEELln1EEEEELb1EEENS_9Iterators16numeric_iteratorIllPlEEZN8rajaperf4apps12INTSC_HEXHEX17runHipVariantImplILm64EEEvNSM_9VariantIDEEUllE1_lNS_4expt15ForallParamPackIJEEES6_SA_TnNSt9enable_ifIXaasr3std10is_base_ofINS5_10DirectBaseET4_EE5valuegtsrT5_10block_sizeLi0EEmE4typeELm64EEEvT1_T0_T2_T3_,comdat
.Lfunc_end4:
	.size	_ZN4RAJA6policy3hip4impl18forallp_hip_kernelINS1_8hip_execINS_17iteration_mapping6DirectENS_3hip11IndexGlobalILNS_9named_dimE0ELi64ELi0EEENS7_40AvoidDeviceMaxThreadOccupancyConcretizerINS7_34FractionOffsetOccupancyConcretizerINS_8FractionImLm1ELm1EEELln1EEEEELb1EEENS_9Iterators16numeric_iteratorIllPlEEZN8rajaperf4apps12INTSC_HEXHEX17runHipVariantImplILm64EEEvNSM_9VariantIDEEUllE1_lNS_4expt15ForallParamPackIJEEES6_SA_TnNSt9enable_ifIXaasr3std10is_base_ofINS5_10DirectBaseET4_EE5valuegtsrT5_10block_sizeLi0EEmE4typeELm64EEEvT1_T0_T2_T3_, .Lfunc_end4-_ZN4RAJA6policy3hip4impl18forallp_hip_kernelINS1_8hip_execINS_17iteration_mapping6DirectENS_3hip11IndexGlobalILNS_9named_dimE0ELi64ELi0EEENS7_40AvoidDeviceMaxThreadOccupancyConcretizerINS7_34FractionOffsetOccupancyConcretizerINS_8FractionImLm1ELm1EEELln1EEEEELb1EEENS_9Iterators16numeric_iteratorIllPlEEZN8rajaperf4apps12INTSC_HEXHEX17runHipVariantImplILm64EEEvNSM_9VariantIDEEUllE1_lNS_4expt15ForallParamPackIJEEES6_SA_TnNSt9enable_ifIXaasr3std10is_base_ofINS5_10DirectBaseET4_EE5valuegtsrT5_10block_sizeLi0EEmE4typeELm64EEEvT1_T0_T2_T3_
                                        ; -- End function
	.section	.AMDGPU.csdata,"",@progbits
; Kernel info:
; codeLenInByte = 108692
; NumSgprs: 62
; NumVgprs: 256
; NumAgprs: 256
; TotalNumVgprs: 512
; ScratchSize: 2320
; MemoryBound: 0
; FloatMode: 240
; IeeeMode: 1
; LDSByteSize: 128 bytes/workgroup (compile time only)
; SGPRBlocks: 7
; VGPRBlocks: 63
; NumSGPRsForWavesPerEU: 62
; NumVGPRsForWavesPerEU: 512
; AccumOffset: 256
; Occupancy: 1
; WaveLimiterHint : 0
; COMPUTE_PGM_RSRC2:SCRATCH_EN: 1
; COMPUTE_PGM_RSRC2:USER_SGPR: 8
; COMPUTE_PGM_RSRC2:TRAP_HANDLER: 0
; COMPUTE_PGM_RSRC2:TGID_X_EN: 1
; COMPUTE_PGM_RSRC2:TGID_Y_EN: 0
; COMPUTE_PGM_RSRC2:TGID_Z_EN: 0
; COMPUTE_PGM_RSRC2:TIDIG_COMP_CNT: 0
; COMPUTE_PGM_RSRC3_GFX90A:ACCUM_OFFSET: 63
; COMPUTE_PGM_RSRC3_GFX90A:TG_SPLIT: 0
	.section	.text._ZN4RAJA6policy3hip4impl18forallp_hip_kernelINS1_8hip_execINS_17iteration_mapping6DirectENS_3hip11IndexGlobalILNS_9named_dimE0ELi64ELi0EEENS7_40AvoidDeviceMaxThreadOccupancyConcretizerINS7_34FractionOffsetOccupancyConcretizerINS_8FractionImLm1ELm1EEELln1EEEEELb1EEENS_9Iterators16numeric_iteratorIllPlEEZN8rajaperf4apps12INTSC_HEXHEX17runHipVariantImplILm64EEEvNSM_9VariantIDEEUllE2_lNS_4expt15ForallParamPackIJEEES6_SA_TnNSt9enable_ifIXaasr3std10is_base_ofINS5_10DirectBaseET4_EE5valuegtsrT5_10block_sizeLi0EEmE4typeELm64EEEvT1_T0_T2_T3_,"axG",@progbits,_ZN4RAJA6policy3hip4impl18forallp_hip_kernelINS1_8hip_execINS_17iteration_mapping6DirectENS_3hip11IndexGlobalILNS_9named_dimE0ELi64ELi0EEENS7_40AvoidDeviceMaxThreadOccupancyConcretizerINS7_34FractionOffsetOccupancyConcretizerINS_8FractionImLm1ELm1EEELln1EEEEELb1EEENS_9Iterators16numeric_iteratorIllPlEEZN8rajaperf4apps12INTSC_HEXHEX17runHipVariantImplILm64EEEvNSM_9VariantIDEEUllE2_lNS_4expt15ForallParamPackIJEEES6_SA_TnNSt9enable_ifIXaasr3std10is_base_ofINS5_10DirectBaseET4_EE5valuegtsrT5_10block_sizeLi0EEmE4typeELm64EEEvT1_T0_T2_T3_,comdat
	.protected	_ZN4RAJA6policy3hip4impl18forallp_hip_kernelINS1_8hip_execINS_17iteration_mapping6DirectENS_3hip11IndexGlobalILNS_9named_dimE0ELi64ELi0EEENS7_40AvoidDeviceMaxThreadOccupancyConcretizerINS7_34FractionOffsetOccupancyConcretizerINS_8FractionImLm1ELm1EEELln1EEEEELb1EEENS_9Iterators16numeric_iteratorIllPlEEZN8rajaperf4apps12INTSC_HEXHEX17runHipVariantImplILm64EEEvNSM_9VariantIDEEUllE2_lNS_4expt15ForallParamPackIJEEES6_SA_TnNSt9enable_ifIXaasr3std10is_base_ofINS5_10DirectBaseET4_EE5valuegtsrT5_10block_sizeLi0EEmE4typeELm64EEEvT1_T0_T2_T3_ ; -- Begin function _ZN4RAJA6policy3hip4impl18forallp_hip_kernelINS1_8hip_execINS_17iteration_mapping6DirectENS_3hip11IndexGlobalILNS_9named_dimE0ELi64ELi0EEENS7_40AvoidDeviceMaxThreadOccupancyConcretizerINS7_34FractionOffsetOccupancyConcretizerINS_8FractionImLm1ELm1EEELln1EEEEELb1EEENS_9Iterators16numeric_iteratorIllPlEEZN8rajaperf4apps12INTSC_HEXHEX17runHipVariantImplILm64EEEvNSM_9VariantIDEEUllE2_lNS_4expt15ForallParamPackIJEEES6_SA_TnNSt9enable_ifIXaasr3std10is_base_ofINS5_10DirectBaseET4_EE5valuegtsrT5_10block_sizeLi0EEmE4typeELm64EEEvT1_T0_T2_T3_
	.globl	_ZN4RAJA6policy3hip4impl18forallp_hip_kernelINS1_8hip_execINS_17iteration_mapping6DirectENS_3hip11IndexGlobalILNS_9named_dimE0ELi64ELi0EEENS7_40AvoidDeviceMaxThreadOccupancyConcretizerINS7_34FractionOffsetOccupancyConcretizerINS_8FractionImLm1ELm1EEELln1EEEEELb1EEENS_9Iterators16numeric_iteratorIllPlEEZN8rajaperf4apps12INTSC_HEXHEX17runHipVariantImplILm64EEEvNSM_9VariantIDEEUllE2_lNS_4expt15ForallParamPackIJEEES6_SA_TnNSt9enable_ifIXaasr3std10is_base_ofINS5_10DirectBaseET4_EE5valuegtsrT5_10block_sizeLi0EEmE4typeELm64EEEvT1_T0_T2_T3_
	.p2align	8
	.type	_ZN4RAJA6policy3hip4impl18forallp_hip_kernelINS1_8hip_execINS_17iteration_mapping6DirectENS_3hip11IndexGlobalILNS_9named_dimE0ELi64ELi0EEENS7_40AvoidDeviceMaxThreadOccupancyConcretizerINS7_34FractionOffsetOccupancyConcretizerINS_8FractionImLm1ELm1EEELln1EEEEELb1EEENS_9Iterators16numeric_iteratorIllPlEEZN8rajaperf4apps12INTSC_HEXHEX17runHipVariantImplILm64EEEvNSM_9VariantIDEEUllE2_lNS_4expt15ForallParamPackIJEEES6_SA_TnNSt9enable_ifIXaasr3std10is_base_ofINS5_10DirectBaseET4_EE5valuegtsrT5_10block_sizeLi0EEmE4typeELm64EEEvT1_T0_T2_T3_,@function
_ZN4RAJA6policy3hip4impl18forallp_hip_kernelINS1_8hip_execINS_17iteration_mapping6DirectENS_3hip11IndexGlobalILNS_9named_dimE0ELi64ELi0EEENS7_40AvoidDeviceMaxThreadOccupancyConcretizerINS7_34FractionOffsetOccupancyConcretizerINS_8FractionImLm1ELm1EEELln1EEEEELb1EEENS_9Iterators16numeric_iteratorIllPlEEZN8rajaperf4apps12INTSC_HEXHEX17runHipVariantImplILm64EEEvNSM_9VariantIDEEUllE2_lNS_4expt15ForallParamPackIJEEES6_SA_TnNSt9enable_ifIXaasr3std10is_base_ofINS5_10DirectBaseET4_EE5valuegtsrT5_10block_sizeLi0EEmE4typeELm64EEEvT1_T0_T2_T3_: ; @_ZN4RAJA6policy3hip4impl18forallp_hip_kernelINS1_8hip_execINS_17iteration_mapping6DirectENS_3hip11IndexGlobalILNS_9named_dimE0ELi64ELi0EEENS7_40AvoidDeviceMaxThreadOccupancyConcretizerINS7_34FractionOffsetOccupancyConcretizerINS_8FractionImLm1ELm1EEELln1EEEEELb1EEENS_9Iterators16numeric_iteratorIllPlEEZN8rajaperf4apps12INTSC_HEXHEX17runHipVariantImplILm64EEEvNSM_9VariantIDEEUllE2_lNS_4expt15ForallParamPackIJEEES6_SA_TnNSt9enable_ifIXaasr3std10is_base_ofINS5_10DirectBaseET4_EE5valuegtsrT5_10block_sizeLi0EEmE4typeELm64EEEvT1_T0_T2_T3_
; %bb.0:
	s_load_dwordx2 s[0:1], s[4:5], 0x20
	s_mov_b32 s7, 0
	s_lshl_b64 s[2:3], s[6:7], 6
	v_or_b32_e32 v0, s2, v0
	v_mov_b32_e32 v1, s3
	s_waitcnt lgkmcnt(0)
	v_cmp_gt_i64_e32 vcc, s[0:1], v[0:1]
	s_and_saveexec_b64 s[0:1], vcc
	s_cbranch_execz .LBB5_17
; %bb.1:
	s_load_dwordx8 s[0:7], s[4:5], 0x0
	s_waitcnt lgkmcnt(0)
	v_mov_b32_e32 v5, s7
	v_add_co_u32_e32 v4, vcc, s6, v0
	v_addc_co_u32_e32 v5, vcc, v1, v5, vcc
	v_mov_b32_e32 v2, s2
	v_mov_b32_e32 v3, s3
	v_lshlrev_b64 v[0:1], 8, v[4:5]
	s_movk_i32 s2, 0x240
	v_mov_b32_e32 v6, s1
	v_add_co_u32_e32 v0, vcc, s0, v0
	v_mad_u64_u32 v[2:3], s[0:1], v4, s2, v[2:3]
	v_addc_co_u32_e32 v1, vcc, v6, v1, vcc
	v_mov_b32_e32 v6, v3
	v_mad_u64_u32 v[6:7], s[0:1], v5, s2, v[6:7]
	v_lshlrev_b64 v[4:5], 3, v[4:5]
	v_mov_b32_e32 v3, v6
	v_cmp_gt_u64_e32 vcc, s[4:5], v[4:5]
	s_and_saveexec_b64 s[0:1], vcc
	s_cbranch_execz .LBB5_3
; %bb.2:
	global_load_dwordx2 v[6:7], v[2:3], off
	global_load_dwordx2 v[8:9], v[2:3], off offset:64
	s_waitcnt vmcnt(0)
	v_add_f64 v[6:7], v[6:7], v[8:9]
	global_store_dwordx2 v[0:1], v[6:7], off
	global_load_dwordx2 v[6:7], v[2:3], off offset:8
	s_nop 0
	global_load_dwordx2 v[8:9], v[2:3], off offset:72
	s_waitcnt vmcnt(0)
	v_add_f64 v[6:7], v[6:7], v[8:9]
	global_store_dwordx2 v[0:1], v[6:7], off offset:8
	global_load_dwordx2 v[6:7], v[2:3], off offset:16
	s_nop 0
	global_load_dwordx2 v[8:9], v[2:3], off offset:80
	s_waitcnt vmcnt(0)
	v_add_f64 v[6:7], v[6:7], v[8:9]
	global_store_dwordx2 v[0:1], v[6:7], off offset:16
	;; [unrolled: 6-line block ×3, first 2 shown]
.LBB5_3:
	s_or_b64 exec, exec, s[0:1]
	v_or_b32_e32 v6, 1, v4
	v_mov_b32_e32 v7, v5
	v_cmp_gt_u64_e32 vcc, s[4:5], v[6:7]
	s_and_saveexec_b64 s[0:1], vcc
	s_cbranch_execz .LBB5_5
; %bb.4:
	global_load_dwordx2 v[6:7], v[2:3], off offset:96
	global_load_dwordx2 v[8:9], v[2:3], off offset:128
	s_waitcnt vmcnt(0)
	v_add_f64 v[6:7], v[6:7], v[8:9]
	global_store_dwordx2 v[0:1], v[6:7], off offset:32
	global_load_dwordx2 v[6:7], v[2:3], off offset:104
	s_nop 0
	global_load_dwordx2 v[8:9], v[2:3], off offset:136
	s_waitcnt vmcnt(0)
	v_add_f64 v[6:7], v[6:7], v[8:9]
	global_store_dwordx2 v[0:1], v[6:7], off offset:40
	global_load_dwordx2 v[6:7], v[2:3], off offset:112
	s_nop 0
	global_load_dwordx2 v[8:9], v[2:3], off offset:144
	s_waitcnt vmcnt(0)
	v_add_f64 v[6:7], v[6:7], v[8:9]
	global_store_dwordx2 v[0:1], v[6:7], off offset:48
	global_load_dwordx2 v[6:7], v[2:3], off offset:120
	s_nop 0
	global_load_dwordx2 v[8:9], v[2:3], off offset:152
	s_waitcnt vmcnt(0)
	v_add_f64 v[6:7], v[6:7], v[8:9]
	global_store_dwordx2 v[0:1], v[6:7], off offset:56
.LBB5_5:
	s_or_b64 exec, exec, s[0:1]
	v_or_b32_e32 v6, 2, v4
	v_mov_b32_e32 v7, v5
	v_cmp_gt_u64_e32 vcc, s[4:5], v[6:7]
	s_and_saveexec_b64 s[0:1], vcc
	s_cbranch_execz .LBB5_7
; %bb.6:
	global_load_dwordx2 v[6:7], v[2:3], off offset:160
	global_load_dwordx2 v[8:9], v[2:3], off offset:192
	s_waitcnt vmcnt(0)
	v_add_f64 v[6:7], v[6:7], v[8:9]
	global_store_dwordx2 v[0:1], v[6:7], off offset:64
	global_load_dwordx2 v[6:7], v[2:3], off offset:168
	s_nop 0
	global_load_dwordx2 v[8:9], v[2:3], off offset:200
	s_waitcnt vmcnt(0)
	v_add_f64 v[6:7], v[6:7], v[8:9]
	global_store_dwordx2 v[0:1], v[6:7], off offset:72
	global_load_dwordx2 v[6:7], v[2:3], off offset:176
	s_nop 0
	global_load_dwordx2 v[8:9], v[2:3], off offset:208
	s_waitcnt vmcnt(0)
	v_add_f64 v[6:7], v[6:7], v[8:9]
	global_store_dwordx2 v[0:1], v[6:7], off offset:80
	global_load_dwordx2 v[6:7], v[2:3], off offset:184
	s_nop 0
	global_load_dwordx2 v[8:9], v[2:3], off offset:216
	s_waitcnt vmcnt(0)
	v_add_f64 v[6:7], v[6:7], v[8:9]
	global_store_dwordx2 v[0:1], v[6:7], off offset:88
.LBB5_7:
	;; [unrolled: 31-line block ×6, first 2 shown]
	s_or_b64 exec, exec, s[0:1]
	v_or_b32_e32 v4, 7, v4
	v_cmp_gt_u64_e32 vcc, s[4:5], v[4:5]
	s_and_b64 exec, exec, vcc
	s_cbranch_execz .LBB5_17
; %bb.16:
	global_load_dwordx2 v[4:5], v[2:3], off offset:480
	global_load_dwordx2 v[6:7], v[2:3], off offset:512
	s_waitcnt vmcnt(0)
	v_add_f64 v[4:5], v[4:5], v[6:7]
	global_store_dwordx2 v[0:1], v[4:5], off offset:224
	global_load_dwordx2 v[4:5], v[2:3], off offset:488
	s_nop 0
	global_load_dwordx2 v[6:7], v[2:3], off offset:520
	s_waitcnt vmcnt(0)
	v_add_f64 v[4:5], v[4:5], v[6:7]
	global_store_dwordx2 v[0:1], v[4:5], off offset:232
	global_load_dwordx2 v[4:5], v[2:3], off offset:496
	s_nop 0
	;; [unrolled: 6-line block ×3, first 2 shown]
	global_load_dwordx2 v[6:7], v[2:3], off offset:536
	s_waitcnt vmcnt(0)
	v_add_f64 v[2:3], v[4:5], v[6:7]
	global_store_dwordx2 v[0:1], v[2:3], off offset:248
.LBB5_17:
	s_endpgm
	.section	.rodata,"a",@progbits
	.p2align	6, 0x0
	.amdhsa_kernel _ZN4RAJA6policy3hip4impl18forallp_hip_kernelINS1_8hip_execINS_17iteration_mapping6DirectENS_3hip11IndexGlobalILNS_9named_dimE0ELi64ELi0EEENS7_40AvoidDeviceMaxThreadOccupancyConcretizerINS7_34FractionOffsetOccupancyConcretizerINS_8FractionImLm1ELm1EEELln1EEEEELb1EEENS_9Iterators16numeric_iteratorIllPlEEZN8rajaperf4apps12INTSC_HEXHEX17runHipVariantImplILm64EEEvNSM_9VariantIDEEUllE2_lNS_4expt15ForallParamPackIJEEES6_SA_TnNSt9enable_ifIXaasr3std10is_base_ofINS5_10DirectBaseET4_EE5valuegtsrT5_10block_sizeLi0EEmE4typeELm64EEEvT1_T0_T2_T3_
		.amdhsa_group_segment_fixed_size 0
		.amdhsa_private_segment_fixed_size 0
		.amdhsa_kernarg_size 44
		.amdhsa_user_sgpr_count 6
		.amdhsa_user_sgpr_private_segment_buffer 1
		.amdhsa_user_sgpr_dispatch_ptr 0
		.amdhsa_user_sgpr_queue_ptr 0
		.amdhsa_user_sgpr_kernarg_segment_ptr 1
		.amdhsa_user_sgpr_dispatch_id 0
		.amdhsa_user_sgpr_flat_scratch_init 0
		.amdhsa_user_sgpr_kernarg_preload_length 0
		.amdhsa_user_sgpr_kernarg_preload_offset 0
		.amdhsa_user_sgpr_private_segment_size 0
		.amdhsa_uses_dynamic_stack 0
		.amdhsa_system_sgpr_private_segment_wavefront_offset 0
		.amdhsa_system_sgpr_workgroup_id_x 1
		.amdhsa_system_sgpr_workgroup_id_y 0
		.amdhsa_system_sgpr_workgroup_id_z 0
		.amdhsa_system_sgpr_workgroup_info 0
		.amdhsa_system_vgpr_workitem_id 0
		.amdhsa_next_free_vgpr 10
		.amdhsa_next_free_sgpr 8
		.amdhsa_accum_offset 12
		.amdhsa_reserve_vcc 1
		.amdhsa_reserve_flat_scratch 0
		.amdhsa_float_round_mode_32 0
		.amdhsa_float_round_mode_16_64 0
		.amdhsa_float_denorm_mode_32 3
		.amdhsa_float_denorm_mode_16_64 3
		.amdhsa_dx10_clamp 1
		.amdhsa_ieee_mode 1
		.amdhsa_fp16_overflow 0
		.amdhsa_tg_split 0
		.amdhsa_exception_fp_ieee_invalid_op 0
		.amdhsa_exception_fp_denorm_src 0
		.amdhsa_exception_fp_ieee_div_zero 0
		.amdhsa_exception_fp_ieee_overflow 0
		.amdhsa_exception_fp_ieee_underflow 0
		.amdhsa_exception_fp_ieee_inexact 0
		.amdhsa_exception_int_div_zero 0
	.end_amdhsa_kernel
	.section	.text._ZN4RAJA6policy3hip4impl18forallp_hip_kernelINS1_8hip_execINS_17iteration_mapping6DirectENS_3hip11IndexGlobalILNS_9named_dimE0ELi64ELi0EEENS7_40AvoidDeviceMaxThreadOccupancyConcretizerINS7_34FractionOffsetOccupancyConcretizerINS_8FractionImLm1ELm1EEELln1EEEEELb1EEENS_9Iterators16numeric_iteratorIllPlEEZN8rajaperf4apps12INTSC_HEXHEX17runHipVariantImplILm64EEEvNSM_9VariantIDEEUllE2_lNS_4expt15ForallParamPackIJEEES6_SA_TnNSt9enable_ifIXaasr3std10is_base_ofINS5_10DirectBaseET4_EE5valuegtsrT5_10block_sizeLi0EEmE4typeELm64EEEvT1_T0_T2_T3_,"axG",@progbits,_ZN4RAJA6policy3hip4impl18forallp_hip_kernelINS1_8hip_execINS_17iteration_mapping6DirectENS_3hip11IndexGlobalILNS_9named_dimE0ELi64ELi0EEENS7_40AvoidDeviceMaxThreadOccupancyConcretizerINS7_34FractionOffsetOccupancyConcretizerINS_8FractionImLm1ELm1EEELln1EEEEELb1EEENS_9Iterators16numeric_iteratorIllPlEEZN8rajaperf4apps12INTSC_HEXHEX17runHipVariantImplILm64EEEvNSM_9VariantIDEEUllE2_lNS_4expt15ForallParamPackIJEEES6_SA_TnNSt9enable_ifIXaasr3std10is_base_ofINS5_10DirectBaseET4_EE5valuegtsrT5_10block_sizeLi0EEmE4typeELm64EEEvT1_T0_T2_T3_,comdat
.Lfunc_end5:
	.size	_ZN4RAJA6policy3hip4impl18forallp_hip_kernelINS1_8hip_execINS_17iteration_mapping6DirectENS_3hip11IndexGlobalILNS_9named_dimE0ELi64ELi0EEENS7_40AvoidDeviceMaxThreadOccupancyConcretizerINS7_34FractionOffsetOccupancyConcretizerINS_8FractionImLm1ELm1EEELln1EEEEELb1EEENS_9Iterators16numeric_iteratorIllPlEEZN8rajaperf4apps12INTSC_HEXHEX17runHipVariantImplILm64EEEvNSM_9VariantIDEEUllE2_lNS_4expt15ForallParamPackIJEEES6_SA_TnNSt9enable_ifIXaasr3std10is_base_ofINS5_10DirectBaseET4_EE5valuegtsrT5_10block_sizeLi0EEmE4typeELm64EEEvT1_T0_T2_T3_, .Lfunc_end5-_ZN4RAJA6policy3hip4impl18forallp_hip_kernelINS1_8hip_execINS_17iteration_mapping6DirectENS_3hip11IndexGlobalILNS_9named_dimE0ELi64ELi0EEENS7_40AvoidDeviceMaxThreadOccupancyConcretizerINS7_34FractionOffsetOccupancyConcretizerINS_8FractionImLm1ELm1EEELln1EEEEELb1EEENS_9Iterators16numeric_iteratorIllPlEEZN8rajaperf4apps12INTSC_HEXHEX17runHipVariantImplILm64EEEvNSM_9VariantIDEEUllE2_lNS_4expt15ForallParamPackIJEEES6_SA_TnNSt9enable_ifIXaasr3std10is_base_ofINS5_10DirectBaseET4_EE5valuegtsrT5_10block_sizeLi0EEmE4typeELm64EEEvT1_T0_T2_T3_
                                        ; -- End function
	.section	.AMDGPU.csdata,"",@progbits
; Kernel info:
; codeLenInByte = 1556
; NumSgprs: 12
; NumVgprs: 10
; NumAgprs: 0
; TotalNumVgprs: 10
; ScratchSize: 0
; MemoryBound: 1
; FloatMode: 240
; IeeeMode: 1
; LDSByteSize: 0 bytes/workgroup (compile time only)
; SGPRBlocks: 1
; VGPRBlocks: 1
; NumSGPRsForWavesPerEU: 12
; NumVGPRsForWavesPerEU: 10
; AccumOffset: 12
; Occupancy: 8
; WaveLimiterHint : 1
; COMPUTE_PGM_RSRC2:SCRATCH_EN: 0
; COMPUTE_PGM_RSRC2:USER_SGPR: 6
; COMPUTE_PGM_RSRC2:TRAP_HANDLER: 0
; COMPUTE_PGM_RSRC2:TGID_X_EN: 1
; COMPUTE_PGM_RSRC2:TGID_Y_EN: 0
; COMPUTE_PGM_RSRC2:TGID_Z_EN: 0
; COMPUTE_PGM_RSRC2:TIDIG_COMP_CNT: 0
; COMPUTE_PGM_RSRC3_GFX90A:ACCUM_OFFSET: 2
; COMPUTE_PGM_RSRC3_GFX90A:TG_SPLIT: 0
	.text
	.p2alignl 6, 3212836864
	.fill 256, 4, 3212836864
	.type	__const._ZN8rajaperf14hex_intsc_subzEPKdS1_iiRdS2_S2_S2_.cyc_nod,@object ; @__const._ZN8rajaperf14hex_intsc_subzEPKdS1_iiRdS2_S2_S2_.cyc_nod
	.section	.rodata,"a",@progbits
	.p2align	4, 0x0
__const._ZN8rajaperf14hex_intsc_subzEPKdS1_iiRdS2_S2_S2_.cyc_nod:
	.long	1                               ; 0x1
	.long	5                               ; 0x5
	;; [unrolled: 1-line block ×7, first 2 shown]
	.size	__const._ZN8rajaperf14hex_intsc_subzEPKdS1_iiRdS2_S2_S2_.cyc_nod, 28

	.type	__const._ZN8rajaperf14hex_intsc_subzEPKdS1_iiRdS2_S2_S2_.vert_cyc,@object ; @__const._ZN8rajaperf14hex_intsc_subzEPKdS1_iiRdS2_S2_S2_.vert_cyc
	.p2align	4, 0x0
__const._ZN8rajaperf14hex_intsc_subzEPKdS1_iiRdS2_S2_S2_.vert_cyc:
	.long	1                               ; 0x1
	.long	3                               ; 0x3
	;; [unrolled: 1-line block ×6, first 2 shown]
	.size	__const._ZN8rajaperf14hex_intsc_subzEPKdS1_iiRdS2_S2_S2_.vert_cyc, 24

	.type	__hip_cuid_f7f4327af843be4b,@object ; @__hip_cuid_f7f4327af843be4b
	.section	.bss,"aw",@nobits
	.globl	__hip_cuid_f7f4327af843be4b
__hip_cuid_f7f4327af843be4b:
	.byte	0                               ; 0x0
	.size	__hip_cuid_f7f4327af843be4b, 1

	.ident	"AMD clang version 19.0.0git (https://github.com/RadeonOpenCompute/llvm-project roc-6.4.0 25133 c7fe45cf4b819c5991fe208aaa96edf142730f1d)"
	.section	".note.GNU-stack","",@progbits
	.addrsig
	.addrsig_sym __hip_cuid_f7f4327af843be4b
	.amdgpu_metadata
---
amdhsa.kernels:
  - .agpr_count:     0
    .args:
      - .address_space:  global
        .offset:         0
        .size:           8
        .value_kind:     global_buffer
      - .address_space:  global
        .offset:         8
        .size:           8
        .value_kind:     global_buffer
      - .offset:         16
        .size:           8
        .value_kind:     by_value
      - .address_space:  global
        .offset:         24
        .size:           8
        .value_kind:     global_buffer
    .group_segment_fixed_size: 128
    .kernarg_segment_align: 8
    .kernarg_segment_size: 32
    .language:       OpenCL C
    .language_version:
      - 2
      - 0
    .max_flat_workgroup_size: 64
    .name:           _ZN8rajaperf4apps16intsc_hexhex_hipILm64EEEvPdS2_mS2_
    .private_segment_fixed_size: 4784
    .sgpr_count:     64
    .sgpr_spill_count: 0
    .symbol:         _ZN8rajaperf4apps16intsc_hexhex_hipILm64EEEvPdS2_mS2_.kd
    .uniform_work_group_size: 1
    .uses_dynamic_stack: false
    .vgpr_count:     168
    .vgpr_spill_count: 5758
    .wavefront_size: 64
  - .agpr_count:     0
    .args:
      - .address_space:  global
        .offset:         0
        .size:           8
        .value_kind:     global_buffer
      - .offset:         8
        .size:           8
        .value_kind:     by_value
      - .address_space:  global
        .offset:         16
        .size:           8
        .value_kind:     global_buffer
    .group_segment_fixed_size: 0
    .kernarg_segment_align: 8
    .kernarg_segment_size: 24
    .language:       OpenCL C
    .language_version:
      - 2
      - 0
    .max_flat_workgroup_size: 1024
    .name:           _ZN8rajaperf4apps32intsc_hexhex_hip_fixup_vv_64to72ILm64EEEvPdmS2_
    .private_segment_fixed_size: 0
    .sgpr_count:     14
    .sgpr_spill_count: 0
    .symbol:         _ZN8rajaperf4apps32intsc_hexhex_hip_fixup_vv_64to72ILm64EEEvPdmS2_.kd
    .uniform_work_group_size: 1
    .uses_dynamic_stack: false
    .vgpr_count:     10
    .vgpr_spill_count: 0
    .wavefront_size: 64
  - .agpr_count:     256
    .args:
      - .offset:         0
        .size:           8
        .value_kind:     by_value
      - .offset:         8
        .size:           8
        .value_kind:     by_value
      - .offset:         16
        .size:           32
        .value_kind:     by_value
    .group_segment_fixed_size: 128
    .kernarg_segment_align: 8
    .kernarg_segment_size: 48
    .language:       OpenCL C
    .language_version:
      - 2
      - 0
    .max_flat_workgroup_size: 64
    .name:           _ZN8rajaperf17lambda_hip_forallILm64EZNS_4apps12INTSC_HEXHEX17runHipVariantImplILm64EEEvNS_9VariantIDEEUllE_EEvllT0_
    .private_segment_fixed_size: 2400
    .sgpr_count:     62
    .sgpr_spill_count: 0
    .symbol:         _ZN8rajaperf17lambda_hip_forallILm64EZNS_4apps12INTSC_HEXHEX17runHipVariantImplILm64EEEvNS_9VariantIDEEUllE_EEvllT0_.kd
    .uniform_work_group_size: 1
    .uses_dynamic_stack: false
    .vgpr_count:     512
    .vgpr_spill_count: 3009
    .wavefront_size: 64
  - .agpr_count:     0
    .args:
      - .offset:         0
        .size:           8
        .value_kind:     by_value
      - .offset:         8
        .size:           8
        .value_kind:     by_value
      - .offset:         16
        .size:           24
        .value_kind:     by_value
    .group_segment_fixed_size: 0
    .kernarg_segment_align: 8
    .kernarg_segment_size: 40
    .language:       OpenCL C
    .language_version:
      - 2
      - 0
    .max_flat_workgroup_size: 64
    .name:           _ZN8rajaperf17lambda_hip_forallILm64EZNS_4apps12INTSC_HEXHEX17runHipVariantImplILm64EEEvNS_9VariantIDEEUllE0_EEvllT0_
    .private_segment_fixed_size: 0
    .sgpr_count:     16
    .sgpr_spill_count: 0
    .symbol:         _ZN8rajaperf17lambda_hip_forallILm64EZNS_4apps12INTSC_HEXHEX17runHipVariantImplILm64EEEvNS_9VariantIDEEUllE0_EEvllT0_.kd
    .uniform_work_group_size: 1
    .uses_dynamic_stack: false
    .vgpr_count:     10
    .vgpr_spill_count: 0
    .wavefront_size: 64
  - .agpr_count:     256
    .args:
      - .offset:         0
        .size:           32
        .value_kind:     by_value
      - .offset:         32
        .size:           8
        .value_kind:     by_value
      - .offset:         40
        .size:           8
        .value_kind:     by_value
      - .offset:         48
        .size:           1
        .value_kind:     by_value
    .group_segment_fixed_size: 128
    .kernarg_segment_align: 8
    .kernarg_segment_size: 52
    .language:       OpenCL C
    .language_version:
      - 2
      - 0
    .max_flat_workgroup_size: 64
    .name:           _ZN4RAJA6policy3hip4impl18forallp_hip_kernelINS1_8hip_execINS_17iteration_mapping6DirectENS_3hip11IndexGlobalILNS_9named_dimE0ELi64ELi0EEENS7_40AvoidDeviceMaxThreadOccupancyConcretizerINS7_34FractionOffsetOccupancyConcretizerINS_8FractionImLm1ELm1EEELln1EEEEELb1EEENS_9Iterators16numeric_iteratorIllPlEEZN8rajaperf4apps12INTSC_HEXHEX17runHipVariantImplILm64EEEvNSM_9VariantIDEEUllE1_lNS_4expt15ForallParamPackIJEEES6_SA_TnNSt9enable_ifIXaasr3std10is_base_ofINS5_10DirectBaseET4_EE5valuegtsrT5_10block_sizeLi0EEmE4typeELm64EEEvT1_T0_T2_T3_
    .private_segment_fixed_size: 2320
    .sgpr_count:     62
    .sgpr_spill_count: 0
    .symbol:         _ZN4RAJA6policy3hip4impl18forallp_hip_kernelINS1_8hip_execINS_17iteration_mapping6DirectENS_3hip11IndexGlobalILNS_9named_dimE0ELi64ELi0EEENS7_40AvoidDeviceMaxThreadOccupancyConcretizerINS7_34FractionOffsetOccupancyConcretizerINS_8FractionImLm1ELm1EEELln1EEEEELb1EEENS_9Iterators16numeric_iteratorIllPlEEZN8rajaperf4apps12INTSC_HEXHEX17runHipVariantImplILm64EEEvNSM_9VariantIDEEUllE1_lNS_4expt15ForallParamPackIJEEES6_SA_TnNSt9enable_ifIXaasr3std10is_base_ofINS5_10DirectBaseET4_EE5valuegtsrT5_10block_sizeLi0EEmE4typeELm64EEEvT1_T0_T2_T3_.kd
    .uniform_work_group_size: 1
    .uses_dynamic_stack: false
    .vgpr_count:     512
    .vgpr_spill_count: 2864
    .wavefront_size: 64
  - .agpr_count:     0
    .args:
      - .offset:         0
        .size:           24
        .value_kind:     by_value
      - .offset:         24
        .size:           8
        .value_kind:     by_value
      - .offset:         32
        .size:           8
        .value_kind:     by_value
      - .offset:         40
        .size:           1
        .value_kind:     by_value
    .group_segment_fixed_size: 0
    .kernarg_segment_align: 8
    .kernarg_segment_size: 44
    .language:       OpenCL C
    .language_version:
      - 2
      - 0
    .max_flat_workgroup_size: 64
    .name:           _ZN4RAJA6policy3hip4impl18forallp_hip_kernelINS1_8hip_execINS_17iteration_mapping6DirectENS_3hip11IndexGlobalILNS_9named_dimE0ELi64ELi0EEENS7_40AvoidDeviceMaxThreadOccupancyConcretizerINS7_34FractionOffsetOccupancyConcretizerINS_8FractionImLm1ELm1EEELln1EEEEELb1EEENS_9Iterators16numeric_iteratorIllPlEEZN8rajaperf4apps12INTSC_HEXHEX17runHipVariantImplILm64EEEvNSM_9VariantIDEEUllE2_lNS_4expt15ForallParamPackIJEEES6_SA_TnNSt9enable_ifIXaasr3std10is_base_ofINS5_10DirectBaseET4_EE5valuegtsrT5_10block_sizeLi0EEmE4typeELm64EEEvT1_T0_T2_T3_
    .private_segment_fixed_size: 0
    .sgpr_count:     12
    .sgpr_spill_count: 0
    .symbol:         _ZN4RAJA6policy3hip4impl18forallp_hip_kernelINS1_8hip_execINS_17iteration_mapping6DirectENS_3hip11IndexGlobalILNS_9named_dimE0ELi64ELi0EEENS7_40AvoidDeviceMaxThreadOccupancyConcretizerINS7_34FractionOffsetOccupancyConcretizerINS_8FractionImLm1ELm1EEELln1EEEEELb1EEENS_9Iterators16numeric_iteratorIllPlEEZN8rajaperf4apps12INTSC_HEXHEX17runHipVariantImplILm64EEEvNSM_9VariantIDEEUllE2_lNS_4expt15ForallParamPackIJEEES6_SA_TnNSt9enable_ifIXaasr3std10is_base_ofINS5_10DirectBaseET4_EE5valuegtsrT5_10block_sizeLi0EEmE4typeELm64EEEvT1_T0_T2_T3_.kd
    .uniform_work_group_size: 1
    .uses_dynamic_stack: false
    .vgpr_count:     10
    .vgpr_spill_count: 0
    .wavefront_size: 64
amdhsa.target:   amdgcn-amd-amdhsa--gfx90a
amdhsa.version:
  - 1
  - 2
...

	.end_amdgpu_metadata
